;; amdgpu-corpus repo=ROCm/rocFFT kind=compiled arch=gfx1201 opt=O3
	.text
	.amdgcn_target "amdgcn-amd-amdhsa--gfx1201"
	.amdhsa_code_object_version 6
	.protected	bluestein_single_fwd_len540_dim1_sp_op_CI_CI ; -- Begin function bluestein_single_fwd_len540_dim1_sp_op_CI_CI
	.globl	bluestein_single_fwd_len540_dim1_sp_op_CI_CI
	.p2align	8
	.type	bluestein_single_fwd_len540_dim1_sp_op_CI_CI,@function
bluestein_single_fwd_len540_dim1_sp_op_CI_CI: ; @bluestein_single_fwd_len540_dim1_sp_op_CI_CI
; %bb.0:
	s_load_b128 s[8:11], s[0:1], 0x28
	v_mul_u32_u24_e32 v1, 0x4be, v0
	v_mov_b32_e32 v73, 0
	s_mov_b32 s2, exec_lo
	s_delay_alu instid0(VALU_DEP_2) | instskip(NEXT) | instid1(VALU_DEP_1)
	v_lshrrev_b32_e32 v2, 16, v1
	v_lshl_add_u32 v72, ttmp9, 2, v2
	s_wait_kmcnt 0x0
	s_delay_alu instid0(VALU_DEP_1)
	v_cmpx_gt_u64_e64 s[8:9], v[72:73]
	s_cbranch_execz .LBB0_31
; %bb.1:
	s_clause 0x1
	s_load_b128 s[4:7], s[0:1], 0x18
	s_load_b64 s[16:17], s[0:1], 0x0
	v_mul_lo_u16 v1, v2, 54
	s_movk_i32 s2, 0xfece
	s_mov_b32 s3, -1
	s_delay_alu instid0(VALU_DEP_1) | instskip(NEXT) | instid1(VALU_DEP_1)
	v_sub_nc_u16 v27, v0, v1
	v_and_b32_e32 v99, 0xffff, v27
	s_wait_kmcnt 0x0
	s_load_b128 s[12:15], s[4:5], 0x0
	s_wait_kmcnt 0x0
	v_mad_co_u64_u32 v[0:1], null, s14, v72, 0
	v_mad_co_u64_u32 v[3:4], null, s12, v99, 0
	s_mul_u64 s[4:5], s[12:13], 0xb4
	s_mul_u64 s[2:3], s[12:13], s[2:3]
	s_delay_alu instid0(SALU_CYCLE_1) | instskip(NEXT) | instid1(VALU_DEP_2)
	s_lshl_b64 s[2:3], s[2:3], 3
	v_mad_co_u64_u32 v[5:6], null, s15, v72, v[1:2]
	s_delay_alu instid0(VALU_DEP_1) | instskip(SKIP_1) | instid1(VALU_DEP_1)
	v_mad_co_u64_u32 v[6:7], null, s13, v99, v[4:5]
	v_mov_b32_e32 v1, v5
	v_lshlrev_b64_e32 v[0:1], 3, v[0:1]
	s_delay_alu instid0(VALU_DEP_3)
	v_mov_b32_e32 v4, v6
	v_lshlrev_b32_e32 v102, 3, v99
	s_clause 0x2
	global_load_b64 v[77:78], v102, s[16:17]
	global_load_b64 v[79:80], v102, s[16:17] offset:432
	global_load_b64 v[75:76], v102, s[16:17] offset:1872
	v_lshlrev_b64_e32 v[3:4], 3, v[3:4]
	s_clause 0x3
	global_load_b64 v[85:86], v102, s[16:17] offset:2880
	global_load_b64 v[83:84], v102, s[16:17] offset:3312
	;; [unrolled: 1-line block ×4, first 2 shown]
	v_add_co_u32 v73, s12, s16, v102
	v_add_co_u32 v0, vcc_lo, s10, v0
	v_add_co_ci_u32_e32 v1, vcc_lo, s11, v1, vcc_lo
	s_lshl_b64 s[10:11], s[4:5], 3
	s_delay_alu instid0(VALU_DEP_2) | instskip(SKIP_1) | instid1(VALU_DEP_2)
	v_add_co_u32 v0, vcc_lo, v0, v3
	s_wait_alu 0xfffd
	v_add_co_ci_u32_e32 v1, vcc_lo, v1, v4, vcc_lo
	s_wait_alu 0xf1ff
	v_add_co_ci_u32_e64 v74, null, s17, 0, s12
	s_wait_alu 0xfffe
	v_add_co_u32 v3, vcc_lo, v0, s10
	s_wait_alu 0xfffd
	v_add_co_ci_u32_e32 v4, vcc_lo, s11, v1, vcc_lo
	s_delay_alu instid0(VALU_DEP_2) | instskip(SKIP_1) | instid1(VALU_DEP_2)
	v_add_co_u32 v5, vcc_lo, v3, s10
	s_wait_alu 0xfffd
	v_add_co_ci_u32_e32 v6, vcc_lo, s11, v4, vcc_lo
	s_delay_alu instid0(VALU_DEP_2) | instskip(SKIP_1) | instid1(VALU_DEP_2)
	v_add_co_u32 v7, vcc_lo, v5, s2
	s_wait_alu 0xfffd
	v_add_co_ci_u32_e32 v8, vcc_lo, s3, v6, vcc_lo
	s_clause 0x2
	global_load_b64 v[9:10], v[0:1], off
	global_load_b64 v[3:4], v[3:4], off
	;; [unrolled: 1-line block ×3, first 2 shown]
	v_add_co_u32 v0, vcc_lo, v7, s10
	s_wait_alu 0xfffd
	v_add_co_ci_u32_e32 v1, vcc_lo, s11, v8, vcc_lo
	global_load_b64 v[11:12], v[7:8], off
	v_and_b32_e32 v2, 3, v2
	global_load_b64 v[13:14], v[0:1], off
	v_add_co_u32 v7, vcc_lo, v0, s10
	s_wait_alu 0xfffd
	v_add_co_ci_u32_e32 v8, vcc_lo, s11, v1, vcc_lo
	s_delay_alu instid0(VALU_DEP_2) | instskip(SKIP_1) | instid1(VALU_DEP_2)
	v_add_co_u32 v0, vcc_lo, v7, s2
	s_wait_alu 0xfffd
	v_add_co_ci_u32_e32 v1, vcc_lo, s3, v8, vcc_lo
	global_load_b64 v[15:16], v[7:8], off
	v_add_co_u32 v7, vcc_lo, v0, s10
	s_wait_alu 0xfffd
	v_add_co_ci_u32_e32 v8, vcc_lo, s11, v1, vcc_lo
	global_load_b64 v[17:18], v[0:1], off
	v_add_co_u32 v0, vcc_lo, v7, s10
	s_wait_alu 0xfffd
	v_add_co_ci_u32_e32 v1, vcc_lo, s11, v8, vcc_lo
	global_load_b64 v[89:90], v102, s[16:17] offset:2304
	global_load_b64 v[19:20], v[7:8], off
	global_load_b64 v[91:92], v102, s[16:17] offset:3744
	global_load_b64 v[21:22], v[0:1], off
	s_load_b64 s[8:9], s[0:1], 0x38
	s_load_b128 s[4:7], s[6:7], 0x0
	v_cmp_gt_u16_e32 vcc_lo, 18, v27
	s_wait_loadcnt 0xa
	v_mul_f32_e32 v7, v9, v78
	s_wait_loadcnt 0x9
	v_mul_f32_e32 v23, v4, v88
	v_mul_u32_u24_e32 v111, 0x21c, v2
	v_mul_f32_e32 v2, v10, v78
	s_wait_loadcnt 0x8
	v_dual_mul_f32 v24, v3, v88 :: v_dual_mul_f32 v25, v6, v86
	v_fmac_f32_e32 v23, v3, v87
	v_dual_mul_f32 v26, v5, v86 :: v_dual_lshlrev_b32 v101, 3, v111
	s_delay_alu instid0(VALU_DEP_3) | instskip(SKIP_2) | instid1(VALU_DEP_3)
	v_fma_f32 v24, v4, v87, -v24
	s_wait_loadcnt 0x7
	v_dual_fmac_f32 v25, v5, v85 :: v_dual_mul_f32 v4, v12, v80
	v_dual_mul_f32 v5, v11, v80 :: v_dual_add_nc_u32 v100, v101, v102
	v_fmac_f32_e32 v2, v9, v77
	v_fma_f32 v26, v6, v85, -v26
	s_delay_alu instid0(VALU_DEP_4) | instskip(NEXT) | instid1(VALU_DEP_4)
	v_fmac_f32_e32 v4, v11, v79
	v_add_nc_u32_e32 v8, 0x400, v100
	v_fma_f32 v3, v10, v77, -v7
	s_wait_loadcnt 0x6
	v_mul_f32_e32 v7, v13, v76
	s_wait_loadcnt 0x5
	v_mul_f32_e32 v9, v15, v84
	v_mul_f32_e32 v10, v16, v84
	v_fma_f32 v5, v12, v79, -v5
	v_mul_f32_e32 v6, v14, v76
	v_fma_f32 v7, v14, v75, -v7
	s_wait_loadcnt 0x4
	v_mul_f32_e32 v12, v18, v82
	v_fma_f32 v11, v16, v83, -v9
	v_dual_mul_f32 v9, v17, v82 :: v_dual_fmac_f32 v10, v15, v83
	s_wait_loadcnt 0x2
	v_mul_f32_e32 v14, v20, v90
	v_dual_mul_f32 v15, v19, v90 :: v_dual_fmac_f32 v12, v17, v81
	s_wait_loadcnt 0x0
	v_mul_f32_e32 v17, v21, v92
	v_mul_f32_e32 v16, v22, v92
	v_fmac_f32_e32 v6, v13, v75
	v_fma_f32 v13, v18, v81, -v9
	v_dual_fmac_f32 v14, v19, v89 :: v_dual_add_nc_u32 v9, 0x800, v100
	v_fma_f32 v15, v20, v89, -v15
	v_fmac_f32_e32 v16, v21, v91
	v_fma_f32 v17, v22, v91, -v17
	ds_store_b64 v100, v[23:24] offset:1440
	ds_store_b64 v100, v[25:26] offset:2880
	ds_store_2addr_b64 v100, v[2:3], v[4:5] offset1:54
	ds_store_b64 v100, v[12:13] offset:864
	ds_store_2addr_b64 v8, v[6:7], v[14:15] offset0:106 offset1:160
	ds_store_2addr_b64 v9, v[10:11], v[16:17] offset0:158 offset1:212
	s_and_saveexec_b32 s12, vcc_lo
	s_cbranch_execz .LBB0_3
; %bb.2:
	v_add_co_u32 v0, s2, v0, s2
	s_wait_alu 0xf1ff
	v_add_co_ci_u32_e64 v1, s2, s3, v1, s2
	global_load_b64 v[4:5], v[73:74], off offset:1296
	global_load_b64 v[2:3], v[0:1], off
	v_add_co_u32 v0, s2, v0, s10
	s_wait_alu 0xf1ff
	v_add_co_ci_u32_e64 v1, s2, s11, v1, s2
	s_delay_alu instid0(VALU_DEP_2) | instskip(SKIP_1) | instid1(VALU_DEP_2)
	v_add_co_u32 v6, s2, v0, s10
	s_wait_alu 0xf1ff
	v_add_co_ci_u32_e64 v7, s2, s11, v1, s2
	global_load_b64 v[0:1], v[0:1], off
	s_clause 0x1
	global_load_b64 v[10:11], v[73:74], off offset:2736
	global_load_b64 v[12:13], v[73:74], off offset:4176
	global_load_b64 v[6:7], v[6:7], off
	s_wait_loadcnt 0x4
	v_mul_f32_e32 v14, v3, v5
	v_mul_f32_e32 v15, v2, v5
	s_delay_alu instid0(VALU_DEP_2)
	v_fmac_f32_e32 v14, v2, v4
	s_wait_loadcnt 0x2
	v_mul_f32_e32 v2, v1, v11
	v_mul_f32_e32 v11, v0, v11
	s_wait_loadcnt 0x0
	v_mul_f32_e32 v5, v7, v13
	v_mul_f32_e32 v13, v6, v13
	v_fma_f32 v15, v3, v4, -v15
	v_fmac_f32_e32 v2, v0, v10
	v_fma_f32 v3, v1, v10, -v11
	v_fmac_f32_e32 v5, v6, v12
	v_fma_f32 v6, v7, v12, -v13
	ds_store_2addr_b64 v8, v[14:15], v[2:3] offset0:34 offset1:214
	ds_store_b64 v100, v[5:6] offset:4176
.LBB0_3:
	s_wait_alu 0xfffe
	s_or_b32 exec_lo, exec_lo, s12
	global_wb scope:SCOPE_SE
	s_wait_dscnt 0x0
	s_wait_kmcnt 0x0
	s_barrier_signal -1
	s_barrier_wait -1
	global_inv scope:SCOPE_SE
	ds_load_2addr_b64 v[0:3], v100 offset1:54
	ds_load_2addr_b64 v[4:7], v100 offset0:108 offset1:180
	ds_load_2addr_b64 v[16:19], v9 offset0:104 offset1:158
	;; [unrolled: 1-line block ×3, first 2 shown]
	ds_load_b64 v[22:23], v100 offset:3744
                                        ; implicit-def: $vgpr8
                                        ; implicit-def: $vgpr20
	s_and_saveexec_b32 s2, vcc_lo
	s_cbranch_execz .LBB0_5
; %bb.4:
	v_add_nc_u32_e32 v8, 0x400, v100
	ds_load_2addr_b64 v[8:11], v8 offset0:34 offset1:214
	ds_load_b64 v[20:21], v100 offset:4176
.LBB0_5:
	s_wait_alu 0xfffe
	s_or_b32 exec_lo, exec_lo, s2
	s_wait_dscnt 0x2
	v_dual_add_f32 v24, v6, v16 :: v_dual_add_f32 v25, v0, v6
	v_sub_f32_e32 v27, v7, v17
	s_load_b64 s[2:3], s[0:1], 0x8
	v_add_co_u32 v115, null, v99, 54
	s_delay_alu instid0(VALU_DEP_3) | instskip(SKIP_2) | instid1(VALU_DEP_3)
	v_fma_f32 v0, -0.5, v24, v0
	v_dual_add_f32 v24, v25, v16 :: v_dual_add_f32 v25, v7, v17
	v_add_co_u32 v114, null, 0x6c, v99
	v_dual_fmamk_f32 v26, v27, 0x3f5db3d7, v0 :: v_dual_add_f32 v7, v1, v7
	s_wait_dscnt 0x1
	v_dual_fmac_f32 v0, 0xbf5db3d7, v27 :: v_dual_add_f32 v27, v12, v18
	v_sub_f32_e32 v6, v6, v16
	v_fma_f32 v1, -0.5, v25, v1
	v_dual_add_f32 v25, v7, v17 :: v_dual_sub_f32 v16, v13, v19
	v_add_f32_e32 v7, v2, v12
	v_fma_f32 v2, -0.5, v27, v2
	s_wait_dscnt 0x0
	v_add_f32_e32 v17, v15, v23
	v_add_co_u32 v112, s0, 0xa2, v99
	s_wait_alu 0xf1ff
	v_add_co_ci_u32_e64 v113, null, 0, 0, s0
	v_fmamk_f32 v28, v16, 0x3f5db3d7, v2
	v_fmamk_f32 v27, v6, 0xbf5db3d7, v1
	v_fmac_f32_e32 v1, 0x3f5db3d7, v6
	v_dual_add_f32 v6, v7, v18 :: v_dual_add_f32 v7, v13, v19
	v_dual_fmac_f32 v2, 0xbf5db3d7, v16 :: v_dual_add_f32 v13, v3, v13
	v_add_f32_e32 v16, v14, v22
	s_delay_alu instid0(VALU_DEP_3) | instskip(SKIP_1) | instid1(VALU_DEP_4)
	v_dual_sub_f32 v12, v12, v18 :: v_dual_fmac_f32 v3, -0.5, v7
	v_mul_u32_u24_e32 v107, 3, v112
	v_add_f32_e32 v7, v13, v19
	v_add_f32_e32 v13, v4, v14
	v_fma_f32 v4, -0.5, v16, v4
	v_sub_f32_e32 v16, v15, v23
	v_sub_f32_e32 v14, v14, v22
	global_wb scope:SCOPE_SE
	s_wait_kmcnt 0x0
	s_barrier_signal -1
	s_barrier_wait -1
	v_fmamk_f32 v30, v16, 0x3f5db3d7, v4
	v_dual_fmac_f32 v4, 0xbf5db3d7, v16 :: v_dual_fmamk_f32 v29, v12, 0xbf5db3d7, v3
	v_dual_fmac_f32 v3, 0x3f5db3d7, v12 :: v_dual_add_f32 v16, v11, v21
	v_add_f32_e32 v12, v13, v22
	v_dual_add_f32 v13, v5, v15 :: v_dual_sub_f32 v22, v10, v20
	v_add_f32_e32 v15, v10, v20
	s_delay_alu instid0(VALU_DEP_4)
	v_fma_f32 v19, -0.5, v16, v9
	global_inv scope:SCOPE_SE
	v_add_f32_e32 v13, v13, v23
	v_fma_f32 v18, -0.5, v15, v8
	v_sub_f32_e32 v15, v11, v21
	v_fmac_f32_e32 v5, -0.5, v17
	v_fmamk_f32 v17, v22, 0xbf5db3d7, v19
	v_fmac_f32_e32 v19, 0x3f5db3d7, v22
	v_mul_u32_u24_e32 v22, 3, v114
	v_fmamk_f32 v16, v15, 0x3f5db3d7, v18
	v_dual_fmamk_f32 v31, v14, 0xbf5db3d7, v5 :: v_dual_fmac_f32 v18, 0xbf5db3d7, v15
	v_fmac_f32_e32 v5, 0x3f5db3d7, v14
	v_mul_lo_u16 v14, v99, 3
	v_mul_u32_u24_e32 v15, 3, v115
	v_lshl_add_u32 v106, v22, 3, v101
	s_delay_alu instid0(VALU_DEP_3) | instskip(NEXT) | instid1(VALU_DEP_3)
	v_and_b32_e32 v14, 0xffff, v14
	v_lshl_add_u32 v108, v15, 3, v101
	s_delay_alu instid0(VALU_DEP_2)
	v_lshl_add_u32 v109, v14, 3, v101
	ds_store_2addr_b64 v109, v[24:25], v[26:27] offset1:1
	ds_store_b64 v109, v[0:1] offset:16
	ds_store_2addr_b64 v108, v[6:7], v[28:29] offset1:1
	ds_store_b64 v108, v[2:3] offset:16
	;; [unrolled: 2-line block ×3, first 2 shown]
	s_and_saveexec_b32 s0, vcc_lo
	s_cbranch_execz .LBB0_7
; %bb.6:
	v_add_f32_e32 v0, v9, v11
	v_add_f32_e32 v2, v8, v10
	v_lshl_add_u32 v3, v107, 3, v101
	s_delay_alu instid0(VALU_DEP_2)
	v_dual_add_f32 v1, v0, v21 :: v_dual_add_f32 v0, v2, v20
	ds_store_2addr_b64 v3, v[0:1], v[16:17] offset1:1
	ds_store_b64 v3, v[18:19] offset:16
.LBB0_7:
	s_wait_alu 0xfffe
	s_or_b32 exec_lo, exec_lo, s0
	v_and_b32_e32 v0, 0xff, v99
	global_wb scope:SCOPE_SE
	s_wait_dscnt 0x0
	s_barrier_signal -1
	s_barrier_wait -1
	global_inv scope:SCOPE_SE
	v_mul_lo_u16 v0, 0xab, v0
	v_cmp_gt_u16_e64 s0, 36, v99
	s_delay_alu instid0(VALU_DEP_2) | instskip(NEXT) | instid1(VALU_DEP_1)
	v_lshrrev_b16 v26, 9, v0
	v_mul_lo_u16 v0, v26, 3
	s_delay_alu instid0(VALU_DEP_1) | instskip(NEXT) | instid1(VALU_DEP_1)
	v_sub_nc_u16 v0, v99, v0
	v_and_b32_e32 v38, 0xff, v0
	s_delay_alu instid0(VALU_DEP_1)
	v_mad_co_u64_u32 v[20:21], null, 0x48, v38, s[2:3]
	s_clause 0x4
	global_load_b128 v[12:15], v[20:21], off
	global_load_b128 v[8:11], v[20:21], off offset:16
	global_load_b128 v[4:7], v[20:21], off offset:32
	;; [unrolled: 1-line block ×3, first 2 shown]
	global_load_b64 v[93:94], v[20:21], off offset:64
	v_and_b32_e32 v30, 0xffff, v26
	ds_load_2addr_b64 v[26:29], v100 offset0:108 offset1:162
	ds_load_2addr_b64 v[22:25], v100 offset1:54
	v_add_nc_u32_e32 v20, 0x400, v100
	v_add_nc_u32_e32 v21, 0x800, v100
	s_wait_loadcnt_dscnt 0x401
	v_mul_f32_e32 v45, v26, v15
	s_wait_loadcnt 0x3
	v_mul_f32_e32 v47, v28, v9
	v_mul_u32_u24_e32 v39, 30, v30
	s_wait_dscnt 0x0
	v_mul_f32_e32 v43, v24, v13
	v_fmac_f32_e32 v45, v27, v14
	s_delay_alu instid0(VALU_DEP_3) | instskip(NEXT) | instid1(VALU_DEP_3)
	v_dual_fmac_f32 v47, v29, v8 :: v_dual_add_nc_u32 v42, v39, v38
	v_fmac_f32_e32 v43, v25, v12
	s_delay_alu instid0(VALU_DEP_2)
	v_lshl_add_u32 v105, v42, 3, v101
	v_mul_f32_e32 v42, v25, v13
	ds_load_2addr_b64 v[30:33], v20 offset0:88 offset1:142
	ds_load_2addr_b64 v[34:37], v21 offset0:68 offset1:122
	;; [unrolled: 1-line block ×3, first 2 shown]
	v_mul_f32_e32 v44, v27, v15
	v_mul_f32_e32 v46, v29, v9
	v_fma_f32 v42, v24, v12, -v42
	global_wb scope:SCOPE_SE
	s_wait_loadcnt_dscnt 0x0
	s_barrier_signal -1
	s_barrier_wait -1
	global_inv scope:SCOPE_SE
	v_add_f32_e32 v67, v43, v47
	v_mul_f32_e32 v48, v31, v11
	v_mul_f32_e32 v49, v30, v11
	v_dual_mul_f32 v59, v40, v94 :: v_dual_mul_f32 v50, v33, v5
	v_mul_f32_e32 v57, v38, v3
	v_dual_mul_f32 v51, v32, v5 :: v_dual_mul_f32 v52, v35, v7
	v_dual_mul_f32 v53, v34, v7 :: v_dual_mul_f32 v54, v37, v1
	;; [unrolled: 1-line block ×3, first 2 shown]
	v_fma_f32 v24, v26, v14, -v44
	v_fma_f32 v25, v28, v8, -v46
	;; [unrolled: 1-line block ×3, first 2 shown]
	v_fmac_f32_e32 v49, v31, v10
	v_fma_f32 v27, v32, v4, -v50
	v_add_f32_e32 v32, v22, v24
	v_fmac_f32_e32 v51, v33, v4
	v_fma_f32 v28, v34, v6, -v52
	v_mul_f32_e32 v58, v41, v94
	v_fma_f32 v29, v36, v0, -v54
	v_fma_f32 v30, v38, v2, -v56
	v_fmac_f32_e32 v55, v37, v0
	v_fmac_f32_e32 v57, v39, v2
	;; [unrolled: 1-line block ×4, first 2 shown]
	v_add_f32_e32 v33, v26, v28
	v_fma_f32 v31, v40, v93, -v58
	v_sub_f32_e32 v40, v28, v30
	v_sub_f32_e32 v34, v45, v57
	v_dual_sub_f32 v36, v24, v26 :: v_dual_sub_f32 v37, v30, v28
	v_sub_f32_e32 v48, v45, v49
	v_dual_add_f32 v38, v24, v30 :: v_dual_add_f32 v41, v23, v45
	v_sub_f32_e32 v46, v26, v28
	v_dual_add_f32 v44, v49, v53 :: v_dual_sub_f32 v39, v26, v24
	v_sub_f32_e32 v50, v57, v53
	v_dual_add_f32 v52, v45, v57 :: v_dual_sub_f32 v61, v51, v55
	v_dual_sub_f32 v45, v49, v45 :: v_dual_sub_f32 v60, v47, v59
	v_sub_f32_e32 v54, v53, v57
	v_add_f32_e32 v56, v42, v25
	v_add_f32_e32 v58, v27, v29
	v_dual_add_f32 v68, v51, v55 :: v_dual_sub_f32 v35, v49, v53
	v_sub_f32_e32 v24, v24, v30
	v_dual_sub_f32 v62, v25, v27 :: v_dual_sub_f32 v63, v31, v29
	v_dual_add_f32 v64, v25, v31 :: v_dual_sub_f32 v65, v27, v25
	v_dual_sub_f32 v66, v29, v31 :: v_dual_sub_f32 v69, v27, v29
	v_sub_f32_e32 v25, v25, v31
	v_dual_sub_f32 v71, v59, v55 :: v_dual_add_f32 v26, v32, v26
	v_dual_add_f32 v95, v47, v59 :: v_dual_add_f32 v32, v36, v37
	v_fma_f32 v97, -0.5, v33, v22
	v_sub_f32_e32 v70, v47, v51
	v_dual_sub_f32 v47, v51, v47 :: v_dual_add_f32 v36, v48, v50
	v_fma_f32 v37, -0.5, v38, v22
	v_dual_add_f32 v22, v39, v40 :: v_dual_add_f32 v27, v56, v27
	v_add_f32_e32 v33, v41, v49
	v_fma_f32 v44, -0.5, v44, v23
	v_fma_f32 v41, -0.5, v52, v23
	v_dual_sub_f32 v96, v55, v59 :: v_dual_add_f32 v23, v45, v54
	v_fma_f32 v38, -0.5, v58, v42
	v_fma_f32 v48, -0.5, v68, v43
	v_dual_add_f32 v39, v62, v63 :: v_dual_fmac_f32 v42, -0.5, v64
	v_dual_add_f32 v40, v65, v66 :: v_dual_add_f32 v45, v67, v51
	v_dual_fmac_f32 v43, -0.5, v95 :: v_dual_add_f32 v26, v26, v28
	v_dual_fmamk_f32 v50, v34, 0x3f737871, v97 :: v_dual_add_f32 v27, v27, v29
	v_fmac_f32_e32 v97, 0xbf737871, v34
	v_dual_add_f32 v49, v70, v71 :: v_dual_add_f32 v28, v33, v53
	v_fmamk_f32 v51, v35, 0xbf737871, v37
	v_fmac_f32_e32 v37, 0x3f737871, v35
	v_fmamk_f32 v52, v24, 0xbf737871, v44
	v_dual_fmac_f32 v44, 0x3f737871, v24 :: v_dual_fmamk_f32 v53, v46, 0x3f737871, v41
	v_add_f32_e32 v47, v47, v96
	v_dual_fmac_f32 v41, 0xbf737871, v46 :: v_dual_fmamk_f32 v54, v25, 0xbf737871, v48
	v_dual_fmamk_f32 v29, v60, 0x3f737871, v38 :: v_dual_add_f32 v26, v26, v30
	v_fmac_f32_e32 v38, 0xbf737871, v60
	v_dual_fmamk_f32 v33, v61, 0xbf737871, v42 :: v_dual_add_f32 v28, v28, v57
	v_dual_fmac_f32 v42, 0x3f737871, v61 :: v_dual_add_f32 v45, v45, v55
	v_dual_fmac_f32 v48, 0x3f737871, v25 :: v_dual_fmamk_f32 v55, v69, 0x3f737871, v43
	v_fmac_f32_e32 v43, 0xbf737871, v69
	v_dual_fmac_f32 v50, 0x3f167918, v35 :: v_dual_fmac_f32 v51, 0x3f167918, v34
	v_dual_fmac_f32 v37, 0xbf167918, v34 :: v_dual_fmac_f32 v38, 0xbf167918, v61
	;; [unrolled: 1-line block ×4, first 2 shown]
	v_dual_add_f32 v24, v27, v31 :: v_dual_fmac_f32 v29, 0x3f167918, v61
	v_dual_fmac_f32 v97, 0xbf167918, v35 :: v_dual_fmac_f32 v52, 0xbf167918, v46
	v_dual_fmac_f32 v42, 0xbf167918, v60 :: v_dual_add_f32 v27, v45, v59
	v_dual_fmac_f32 v50, 0x3e9e377a, v32 :: v_dual_fmac_f32 v51, 0x3e9e377a, v22
	s_delay_alu instid0(VALU_DEP_3) | instskip(SKIP_4) | instid1(VALU_DEP_4)
	v_dual_fmac_f32 v37, 0x3e9e377a, v22 :: v_dual_fmac_f32 v52, 0x3e9e377a, v36
	v_fmac_f32_e32 v54, 0x3e9e377a, v49
	v_dual_add_f32 v22, v26, v24 :: v_dual_fmac_f32 v29, 0x3e9e377a, v39
	v_dual_fmac_f32 v33, 0x3f167918, v60 :: v_dual_fmac_f32 v48, 0x3f167918, v69
	v_dual_fmac_f32 v55, 0xbf167918, v25 :: v_dual_sub_f32 v24, v26, v24
	v_dual_fmac_f32 v43, 0x3f167918, v25 :: v_dual_mul_f32 v34, 0x3f167918, v54
	v_dual_fmac_f32 v41, 0x3e9e377a, v23 :: v_dual_fmac_f32 v42, 0x3e9e377a, v40
	s_delay_alu instid0(VALU_DEP_4) | instskip(NEXT) | instid1(VALU_DEP_4)
	v_dual_fmac_f32 v33, 0x3e9e377a, v40 :: v_dual_fmac_f32 v48, 0x3e9e377a, v49
	v_fmac_f32_e32 v55, 0x3e9e377a, v47
	s_delay_alu instid0(VALU_DEP_4) | instskip(NEXT) | instid1(VALU_DEP_4)
	v_dual_sub_f32 v25, v28, v27 :: v_dual_fmac_f32 v34, 0x3f4f1bbd, v29
	v_dual_fmac_f32 v43, 0x3e9e377a, v47 :: v_dual_mul_f32 v26, 0x3e9e377a, v42
	v_dual_fmac_f32 v97, 0x3e9e377a, v32 :: v_dual_fmac_f32 v38, 0x3e9e377a, v39
	v_dual_fmac_f32 v44, 0x3e9e377a, v36 :: v_dual_fmac_f32 v53, 0x3e9e377a, v23
	v_dual_add_f32 v23, v28, v27 :: v_dual_mul_f32 v30, 0x3f4f1bbd, v48
	s_delay_alu instid0(VALU_DEP_4) | instskip(SKIP_2) | instid1(VALU_DEP_4)
	v_fma_f32 v40, 0x3f737871, v43, -v26
	v_dual_mul_f32 v35, 0x3f737871, v55 :: v_dual_add_f32 v26, v50, v34
	v_dual_mul_f32 v45, 0xbf737871, v33 :: v_dual_sub_f32 v36, v50, v34
	v_fma_f32 v47, 0xbf167918, v38, -v30
	s_delay_alu instid0(VALU_DEP_4) | instskip(NEXT) | instid1(VALU_DEP_4)
	v_add_f32_e32 v30, v37, v40
	v_dual_mul_f32 v28, 0x3e9e377a, v43 :: v_dual_fmac_f32 v35, 0x3e9e377a, v33
	v_mul_f32_e32 v27, 0x3f4f1bbd, v38
	v_dual_fmac_f32 v45, 0x3e9e377a, v55 :: v_dual_sub_f32 v40, v37, v40
	s_delay_alu instid0(VALU_DEP_3) | instskip(NEXT) | instid1(VALU_DEP_4)
	v_fma_f32 v46, 0xbf737871, v42, -v28
	v_add_f32_e32 v28, v51, v35
	s_delay_alu instid0(VALU_DEP_4) | instskip(SKIP_3) | instid1(VALU_DEP_3)
	v_fma_f32 v43, 0x3f167918, v48, -v27
	v_dual_mul_f32 v39, 0xbf167918, v29 :: v_dual_sub_f32 v38, v51, v35
	v_add_f32_e32 v29, v53, v45
	v_add_f32_e32 v31, v41, v46
	v_dual_add_f32 v32, v97, v43 :: v_dual_fmac_f32 v39, 0x3f4f1bbd, v54
	v_add_f32_e32 v33, v44, v47
	v_sub_f32_e32 v42, v97, v43
	v_sub_f32_e32 v41, v41, v46
	;; [unrolled: 1-line block ×3, first 2 shown]
	v_add_f32_e32 v27, v52, v39
	v_sub_f32_e32 v37, v52, v39
	v_sub_f32_e32 v39, v53, v45
	ds_store_2addr_b64 v105, v[22:23], v[26:27] offset1:3
	ds_store_2addr_b64 v105, v[28:29], v[30:31] offset0:6 offset1:9
	ds_store_2addr_b64 v105, v[32:33], v[24:25] offset0:12 offset1:15
	;; [unrolled: 1-line block ×4, first 2 shown]
	global_wb scope:SCOPE_SE
	s_wait_dscnt 0x0
	s_barrier_signal -1
	s_barrier_wait -1
	global_inv scope:SCOPE_SE
	ds_load_2addr_b64 v[44:47], v100 offset1:90
	ds_load_2addr_b64 v[52:55], v20 offset0:52 offset1:142
	ds_load_2addr_b64 v[48:51], v21 offset0:104 offset1:194
	s_and_saveexec_b32 s1, s0
	s_cbranch_execz .LBB0_9
; %bb.8:
	ds_load_2addr_b64 v[16:19], v21 offset0:158 offset1:248
	ds_load_2addr_b64 v[36:39], v100 offset0:54 offset1:144
	;; [unrolled: 1-line block ×3, first 2 shown]
.LBB0_9:
	s_wait_alu 0xfffe
	s_or_b32 exec_lo, exec_lo, s1
	v_subrev_nc_u32_e32 v20, 30, v99
	v_cmp_gt_u16_e64 s1, 30, v99
	s_wait_alu 0xf1ff
	s_delay_alu instid0(VALU_DEP_1) | instskip(NEXT) | instid1(VALU_DEP_1)
	v_cndmask_b32_e64 v58, v20, v99, s1
	v_mul_i32_i24_e32 v20, 40, v58
	v_mul_hi_i32_i24_e32 v21, 40, v58
	s_delay_alu instid0(VALU_DEP_2) | instskip(SKIP_1) | instid1(VALU_DEP_2)
	v_add_co_u32 v20, s1, s2, v20
	s_wait_alu 0xf1ff
	v_add_co_ci_u32_e64 v21, s1, s3, v21, s1
	v_cmp_lt_u16_e64 s1, 29, v99
	s_clause 0x1
	global_load_b128 v[24:27], v[20:21], off offset:216
	global_load_b128 v[32:35], v[20:21], off offset:232
	v_and_b32_e32 v22, 0xff, v115
	global_load_b64 v[97:98], v[20:21], off offset:248
	v_mul_lo_u16 v22, 0x89, v22
	s_delay_alu instid0(VALU_DEP_1) | instskip(NEXT) | instid1(VALU_DEP_1)
	v_lshrrev_b16 v103, 12, v22
	v_mul_lo_u16 v20, v103, 30
	s_delay_alu instid0(VALU_DEP_1) | instskip(SKIP_1) | instid1(VALU_DEP_1)
	v_sub_nc_u16 v20, v115, v20
	s_wait_loadcnt_dscnt 0x201
	v_dual_mul_f32 v59, v52, v27 :: v_dual_and_b32 v104, 0xff, v20
	s_delay_alu instid0(VALU_DEP_1)
	v_mad_co_u64_u32 v[56:57], null, v104, 40, s[2:3]
	s_wait_loadcnt 0x1
	v_mul_f32_e32 v60, v55, v33
	s_clause 0x2
	global_load_b128 v[28:31], v[56:57], off offset:216
	global_load_b128 v[20:23], v[56:57], off offset:232
	global_load_b64 v[95:96], v[56:57], off offset:248
	v_fmac_f32_e32 v59, v53, v26
	s_wait_alu 0xf1ff
	v_cndmask_b32_e64 v56, 0, 0xb4, s1
	s_wait_dscnt 0x0
	v_dual_mul_f32 v57, v46, v25 :: v_dual_mul_f32 v62, v49, v35
	v_mul_f32_e32 v63, v48, v35
	v_mul_f32_e32 v61, v54, v33
	v_add_nc_u32_e32 v56, v58, v56
	s_wait_loadcnt 0x3
	v_dual_mul_f32 v58, v53, v27 :: v_dual_mul_f32 v65, v50, v98
	v_fmac_f32_e32 v57, v47, v24
	v_fma_f32 v48, v48, v34, -v62
	v_lshl_add_u32 v110, v56, 3, v101
	v_mul_f32_e32 v56, v47, v25
	v_fma_f32 v47, v54, v32, -v60
	v_fmac_f32_e32 v65, v51, v97
	global_wb scope:SCOPE_SE
	s_wait_loadcnt 0x0
	s_barrier_signal -1
	v_fma_f32 v56, v46, v24, -v56
	v_fma_f32 v46, v52, v26, -v58
	v_mul_f32_e32 v64, v51, v98
	v_fmac_f32_e32 v61, v55, v32
	v_fmac_f32_e32 v63, v49, v34
	s_barrier_wait -1
	v_add_f32_e32 v51, v46, v48
	v_fma_f32 v49, v50, v97, -v64
	v_add_f32_e32 v50, v44, v46
	v_dual_sub_f32 v46, v46, v48 :: v_dual_add_f32 v53, v45, v59
	v_dual_add_f32 v55, v56, v47 :: v_dual_add_f32 v60, v57, v61
	s_delay_alu instid0(VALU_DEP_4) | instskip(NEXT) | instid1(VALU_DEP_4)
	v_add_f32_e32 v58, v47, v49
	v_add_f32_e32 v48, v50, v48
	v_sub_f32_e32 v52, v59, v63
	v_dual_add_f32 v54, v59, v63 :: v_dual_sub_f32 v59, v61, v65
	v_add_f32_e32 v61, v61, v65
	v_dual_sub_f32 v47, v47, v49 :: v_dual_fmac_f32 v56, -0.5, v58
	v_fma_f32 v50, -0.5, v51, v44
	v_add_f32_e32 v51, v53, v63
	v_fma_f32 v62, -0.5, v54, v45
	v_add_f32_e32 v49, v55, v49
	v_add_f32_e32 v53, v60, v65
	v_fmac_f32_e32 v57, -0.5, v61
	global_inv scope:SCOPE_SE
	v_fmamk_f32 v68, v52, 0x3f5db3d7, v50
	v_fmac_f32_e32 v50, 0xbf5db3d7, v52
	v_fmamk_f32 v52, v59, 0x3f5db3d7, v56
	v_mul_f32_e32 v54, v39, v29
	v_dual_mul_f32 v60, v38, v29 :: v_dual_mul_f32 v55, v41, v31
	v_dual_mul_f32 v58, v40, v31 :: v_dual_mul_f32 v61, v43, v21
	v_dual_mul_f32 v63, v42, v21 :: v_dual_mul_f32 v64, v17, v23
	v_dual_mul_f32 v65, v16, v23 :: v_dual_mul_f32 v66, v19, v96
	v_mul_f32_e32 v67, v18, v96
	v_dual_fmamk_f32 v69, v46, 0xbf5db3d7, v62 :: v_dual_add_f32 v44, v48, v49
	v_fmac_f32_e32 v62, 0x3f5db3d7, v46
	v_dual_fmac_f32 v56, 0xbf5db3d7, v59 :: v_dual_fmamk_f32 v59, v47, 0xbf5db3d7, v57
	v_dual_fmac_f32 v57, 0x3f5db3d7, v47 :: v_dual_sub_f32 v46, v48, v49
	v_dual_add_f32 v45, v51, v53 :: v_dual_fmac_f32 v58, v41, v30
	v_fma_f32 v49, v38, v28, -v54
	v_dual_fmac_f32 v60, v39, v28 :: v_dual_fmac_f32 v65, v17, v22
	v_fma_f32 v38, v40, v30, -v55
	v_fma_f32 v39, v42, v20, -v61
	v_fmac_f32_e32 v63, v43, v20
	v_fma_f32 v16, v16, v22, -v64
	v_sub_f32_e32 v48, v58, v65
	v_fma_f32 v18, v18, v95, -v66
	v_dual_fmac_f32 v67, v19, v95 :: v_dual_mul_f32 v42, 0xbf5db3d7, v52
	v_dual_sub_f32 v47, v51, v53 :: v_dual_mul_f32 v40, 0x3f5db3d7, v59
	v_mul_f32_e32 v41, -0.5, v56
	s_delay_alu instid0(VALU_DEP_4) | instskip(NEXT) | instid1(VALU_DEP_4)
	v_dual_mul_f32 v43, -0.5, v57 :: v_dual_add_f32 v54, v39, v18
	v_dual_add_f32 v17, v36, v38 :: v_dual_sub_f32 v64, v63, v67
	v_add_f32_e32 v19, v38, v16
	v_dual_add_f32 v51, v37, v58 :: v_dual_fmac_f32 v40, 0.5, v52
	v_dual_add_f32 v53, v58, v65 :: v_dual_fmac_f32 v42, 0.5, v59
	v_dual_add_f32 v58, v63, v67 :: v_dual_sub_f32 v61, v38, v16
	s_delay_alu instid0(VALU_DEP_4) | instskip(SKIP_3) | instid1(VALU_DEP_3)
	v_fmac_f32_e32 v36, -0.5, v19
	v_add_f32_e32 v38, v49, v39
	v_dual_add_f32 v55, v60, v63 :: v_dual_add_f32 v16, v17, v16
	v_dual_sub_f32 v39, v39, v18 :: v_dual_add_f32 v52, v68, v40
	v_dual_fmac_f32 v41, 0x3f5db3d7, v57 :: v_dual_add_f32 v18, v38, v18
	v_dual_fmac_f32 v43, 0xbf5db3d7, v56 :: v_dual_fmac_f32 v60, -0.5, v58
	s_delay_alu instid0(VALU_DEP_2) | instskip(SKIP_1) | instid1(VALU_DEP_2)
	v_dual_fmac_f32 v49, -0.5, v54 :: v_dual_add_f32 v54, v50, v41
	v_dual_add_f32 v19, v55, v67 :: v_dual_sub_f32 v58, v50, v41
	v_dual_add_f32 v55, v62, v43 :: v_dual_fmamk_f32 v50, v64, 0x3f5db3d7, v49
	v_fmac_f32_e32 v49, 0xbf5db3d7, v64
	v_dual_add_f32 v17, v51, v65 :: v_dual_sub_f32 v56, v68, v40
	v_dual_fmac_f32 v37, -0.5, v53 :: v_dual_fmamk_f32 v38, v48, 0x3f5db3d7, v36
	v_dual_add_f32 v53, v69, v42 :: v_dual_fmac_f32 v36, 0xbf5db3d7, v48
	v_sub_f32_e32 v57, v69, v42
	v_dual_fmamk_f32 v51, v39, 0xbf5db3d7, v60 :: v_dual_mul_f32 v42, 0xbf5db3d7, v50
	v_fmac_f32_e32 v60, 0x3f5db3d7, v39
	v_dual_sub_f32 v48, v16, v18 :: v_dual_mul_f32 v39, -0.5, v49
	s_delay_alu instid0(VALU_DEP_3) | instskip(SKIP_2) | instid1(VALU_DEP_4)
	v_mul_f32_e32 v41, 0x3f5db3d7, v51
	v_dual_sub_f32 v59, v62, v43 :: v_dual_fmamk_f32 v40, v61, 0xbf5db3d7, v37
	v_dual_fmac_f32 v37, 0x3f5db3d7, v61 :: v_dual_fmac_f32 v42, 0.5, v51
	v_fmac_f32_e32 v39, 0x3f5db3d7, v60
	s_delay_alu instid0(VALU_DEP_4)
	v_fmac_f32_e32 v41, 0.5, v50
	ds_store_2addr_b64 v110, v[44:45], v[52:53] offset1:30
	ds_store_2addr_b64 v110, v[54:55], v[46:47] offset0:60 offset1:90
	ds_store_2addr_b64 v110, v[56:57], v[58:59] offset0:120 offset1:150
	v_sub_f32_e32 v51, v40, v42
	v_dual_sub_f32 v68, v36, v39 :: v_dual_mul_f32 v43, -0.5, v60
	v_sub_f32_e32 v50, v38, v41
	s_delay_alu instid0(VALU_DEP_2) | instskip(SKIP_1) | instid1(VALU_DEP_2)
	v_fmac_f32_e32 v43, 0xbf5db3d7, v49
	v_sub_f32_e32 v49, v17, v19
	v_sub_f32_e32 v69, v37, v43
	s_and_saveexec_b32 s1, s0
	s_cbranch_execz .LBB0_11
; %bb.10:
	v_dual_add_f32 v41, v38, v41 :: v_dual_and_b32 v44, 0xffff, v103
	v_dual_add_f32 v37, v37, v43 :: v_dual_add_f32 v42, v40, v42
	v_dual_add_f32 v17, v17, v19 :: v_dual_add_f32 v16, v16, v18
	s_delay_alu instid0(VALU_DEP_3) | instskip(SKIP_1) | instid1(VALU_DEP_2)
	v_mul_u32_u24_e32 v44, 0xb4, v44
	v_add_f32_e32 v36, v36, v39
	v_add_nc_u32_e32 v43, v44, v104
	s_delay_alu instid0(VALU_DEP_1)
	v_lshl_add_u32 v18, v43, 3, v101
	ds_store_2addr_b64 v18, v[16:17], v[41:42] offset1:30
	ds_store_2addr_b64 v18, v[36:37], v[48:49] offset0:60 offset1:90
	ds_store_2addr_b64 v18, v[50:51], v[68:69] offset0:120 offset1:150
.LBB0_11:
	s_wait_alu 0xfffe
	s_or_b32 exec_lo, exec_lo, s1
	v_add_nc_u32_e32 v17, 0x800, v100
	v_add_nc_u32_e32 v16, 0x400, v100
	global_wb scope:SCOPE_SE
	s_wait_dscnt 0x0
	s_barrier_signal -1
	s_barrier_wait -1
	global_inv scope:SCOPE_SE
	ds_load_2addr_b64 v[60:63], v100 offset1:54
	ds_load_2addr_b64 v[56:59], v100 offset0:108 offset1:180
	ds_load_2addr_b64 v[64:67], v17 offset0:104 offset1:158
	;; [unrolled: 1-line block ×3, first 2 shown]
	ds_load_b64 v[70:71], v100 offset:3744
	s_and_saveexec_b32 s1, vcc_lo
	s_cbranch_execz .LBB0_13
; %bb.12:
	ds_load_2addr_b64 v[48:51], v16 offset0:34 offset1:214
	ds_load_b64 v[68:69], v100 offset:4176
.LBB0_13:
	s_wait_alu 0xfffe
	s_or_b32 exec_lo, exec_lo, s1
	v_lshlrev_b32_e32 v16, 4, v99
	v_lshlrev_b32_e32 v17, 4, v115
	v_lshl_add_u32 v111, v111, 3, v102
	global_load_b128 v[44:47], v16, s[2:3] offset:1416
	v_lshlrev_b32_e32 v16, 4, v114
	s_clause 0x1
	global_load_b128 v[40:43], v17, s[2:3] offset:1416
	global_load_b128 v[36:39], v16, s[2:3] offset:1416
	v_add_co_u32 v16, s1, 0xffffffee, v99
	s_wait_alu 0xf1ff
	v_add_co_ci_u32_e64 v17, null, 0, -1, s1
	s_delay_alu instid0(VALU_DEP_2) | instskip(NEXT) | instid1(VALU_DEP_2)
	v_cndmask_b32_e32 v16, v16, v112, vcc_lo
	v_dual_cndmask_b32 v17, v17, v113 :: v_dual_add_nc_u32 v112, 0x800, v111
	s_delay_alu instid0(VALU_DEP_1) | instskip(NEXT) | instid1(VALU_DEP_1)
	v_lshlrev_b64_e32 v[16:17], 4, v[16:17]
	v_add_co_u32 v16, s1, s2, v16
	s_wait_alu 0xf1ff
	s_delay_alu instid0(VALU_DEP_2)
	v_add_co_ci_u32_e64 v17, s1, s3, v17, s1
	global_load_b128 v[16:19], v[16:17], off offset:1416
	s_wait_loadcnt_dscnt 0x303
	v_mul_f32_e32 v113, v59, v45
	s_wait_dscnt 0x2
	v_dual_mul_f32 v114, v58, v45 :: v_dual_mul_f32 v115, v65, v47
	s_wait_loadcnt_dscnt 0x201
	v_dual_mul_f32 v116, v64, v47 :: v_dual_mul_f32 v117, v53, v41
	s_wait_loadcnt 0x1
	v_mul_f32_e32 v121, v55, v37
	v_dual_mul_f32 v118, v52, v41 :: v_dual_mul_f32 v119, v67, v43
	v_fma_f32 v58, v58, v44, -v113
	v_fmac_f32_e32 v114, v59, v44
	v_fma_f32 v59, v64, v46, -v115
	v_mul_f32_e32 v120, v66, v43
	s_wait_dscnt 0x0
	v_dual_mul_f32 v122, v54, v37 :: v_dual_mul_f32 v123, v71, v39
	v_fmac_f32_e32 v116, v65, v46
	v_fma_f32 v52, v52, v40, -v117
	v_fmac_f32_e32 v118, v53, v40
	v_fma_f32 v53, v54, v36, -v121
	v_add_f32_e32 v65, v58, v59
	v_mul_f32_e32 v124, v70, v39
	v_fma_f32 v64, v66, v42, -v119
	v_fma_f32 v54, v70, v38, -v123
	v_dual_fmac_f32 v122, v55, v36 :: v_dual_add_f32 v55, v60, v58
	v_dual_fmac_f32 v120, v67, v42 :: v_dual_add_f32 v113, v62, v52
	v_add_f32_e32 v67, v61, v114
	v_dual_add_f32 v121, v56, v53 :: v_dual_fmac_f32 v124, v71, v38
	s_delay_alu instid0(VALU_DEP_3) | instskip(SKIP_2) | instid1(VALU_DEP_4)
	v_sub_f32_e32 v115, v118, v120
	v_add_f32_e32 v123, v53, v54
	v_dual_sub_f32 v119, v52, v64 :: v_dual_add_f32 v126, v57, v122
	v_sub_f32_e32 v125, v122, v124
	v_add_f32_e32 v122, v122, v124
	v_sub_f32_e32 v71, v58, v59
	v_dual_sub_f32 v66, v114, v116 :: v_dual_add_f32 v117, v63, v118
	v_dual_add_f32 v70, v114, v116 :: v_dual_sub_f32 v127, v53, v54
	s_delay_alu instid0(VALU_DEP_4) | instskip(SKIP_3) | instid1(VALU_DEP_4)
	v_dual_add_f32 v118, v118, v120 :: v_dual_fmac_f32 v57, -0.5, v122
	v_add_f32_e32 v114, v52, v64
	v_add_f32_e32 v58, v55, v59
	v_fma_f32 v52, -0.5, v65, v60
	v_fmac_f32_e32 v63, -0.5, v118
	v_add_f32_e32 v59, v67, v116
	v_fma_f32 v53, -0.5, v70, v61
	v_add_f32_e32 v60, v113, v64
	v_fma_f32 v62, -0.5, v114, v62
	s_wait_loadcnt 0x0
	v_dual_add_f32 v61, v117, v120 :: v_dual_mul_f32 v114, v50, v17
	v_dual_add_f32 v65, v126, v124 :: v_dual_mul_f32 v116, v69, v19
	v_mul_f32_e32 v113, v51, v17
	v_dual_mul_f32 v117, v68, v19 :: v_dual_add_f32 v64, v121, v54
	v_fmamk_f32 v54, v66, 0x3f5db3d7, v52
	v_dual_fmac_f32 v52, 0xbf5db3d7, v66 :: v_dual_fmamk_f32 v55, v71, 0xbf5db3d7, v53
	s_delay_alu instid0(VALU_DEP_4)
	v_fma_f32 v50, v50, v16, -v113
	v_fma_f32 v68, v68, v18, -v116
	v_dual_fmac_f32 v114, v51, v16 :: v_dual_fmac_f32 v117, v69, v18
	v_fmac_f32_e32 v53, 0x3f5db3d7, v71
	ds_store_b64 v100, v[54:55] offset:1440
	ds_store_b64 v100, v[52:53] offset:2880
	v_dual_add_f32 v51, v50, v68 :: v_dual_add_f32 v52, v48, v50
	v_dual_add_f32 v53, v114, v117 :: v_dual_add_f32 v54, v49, v114
	s_delay_alu instid0(VALU_DEP_2) | instskip(NEXT) | instid1(VALU_DEP_2)
	v_dual_sub_f32 v55, v114, v117 :: v_dual_fmac_f32 v48, -0.5, v51
	v_dual_sub_f32 v50, v50, v68 :: v_dual_fmac_f32 v49, -0.5, v53
	v_fma_f32 v56, -0.5, v123, v56
	s_delay_alu instid0(VALU_DEP_4) | instskip(NEXT) | instid1(VALU_DEP_4)
	v_dual_add_f32 v52, v52, v68 :: v_dual_add_f32 v53, v54, v117
	v_fmamk_f32 v54, v55, 0x3f5db3d7, v48
	s_delay_alu instid0(VALU_DEP_4)
	v_dual_fmac_f32 v48, 0xbf5db3d7, v55 :: v_dual_fmamk_f32 v55, v50, 0xbf5db3d7, v49
	v_dual_fmac_f32 v49, 0x3f5db3d7, v50 :: v_dual_fmamk_f32 v66, v115, 0x3f5db3d7, v62
	;; [unrolled: 1-line block ×5, first 2 shown]
	v_fmac_f32_e32 v57, 0x3f5db3d7, v127
	ds_store_2addr_b64 v100, v[58:59], v[60:61] offset1:54
	ds_store_b64 v100, v[62:63] offset:3312
	ds_store_b64 v100, v[66:67] offset:1872
	;; [unrolled: 1-line block ×3, first 2 shown]
	ds_store_2addr_b64 v112, v[70:71], v[56:57] offset0:32 offset1:212
	s_and_saveexec_b32 s1, vcc_lo
	s_cbranch_execz .LBB0_15
; %bb.14:
	v_add_nc_u32_e32 v50, 0x400, v100
	ds_store_2addr_b64 v50, v[52:53], v[54:55] offset0:34 offset1:214
	ds_store_b64 v100, v[48:49] offset:4176
.LBB0_15:
	s_wait_alu 0xfffe
	s_or_b32 exec_lo, exec_lo, s1
	s_add_nc_u64 s[2:3], s[16:17], 0x10e0
	global_wb scope:SCOPE_SE
	s_wait_dscnt 0x0
	s_barrier_signal -1
	s_barrier_wait -1
	global_inv scope:SCOPE_SE
	s_clause 0x8
	global_load_b64 v[112:113], v[73:74], off offset:4320
	global_load_b64 v[114:115], v102, s[2:3] offset:1440
	global_load_b64 v[116:117], v102, s[2:3] offset:2880
	global_load_b64 v[118:119], v102, s[2:3] offset:432
	global_load_b64 v[120:121], v102, s[2:3] offset:1872
	global_load_b64 v[122:123], v102, s[2:3] offset:3312
	global_load_b64 v[124:125], v102, s[2:3] offset:864
	global_load_b64 v[126:127], v102, s[2:3] offset:2304
	global_load_b64 v[128:129], v102, s[2:3] offset:3744
	ds_load_2addr_b64 v[56:59], v100 offset1:54
	ds_load_2addr_b64 v[60:63], v100 offset0:108 offset1:180
	v_add_nc_u32_e32 v51, 0x800, v100
	s_wait_loadcnt_dscnt 0x801
	v_dual_mul_f32 v133, v56, v113 :: v_dual_add_nc_u32 v50, 0x400, v100
	v_mul_f32_e32 v132, v57, v113
	ds_load_2addr_b64 v[64:67], v51 offset0:104 offset1:158
	ds_load_2addr_b64 v[68:71], v50 offset0:106 offset1:160
	ds_load_b64 v[130:131], v100 offset:3744
	s_wait_loadcnt_dscnt 0x703
	v_mul_f32_e32 v134, v63, v115
	v_mul_f32_e32 v113, v62, v115
	v_fmac_f32_e32 v133, v57, v112
	s_wait_loadcnt 0x2
	v_mul_f32_e32 v139, v61, v125
	v_fma_f32 v132, v56, v112, -v132
	v_mul_f32_e32 v136, v59, v119
	v_fmac_f32_e32 v113, v63, v114
	s_wait_dscnt 0x2
	v_mul_f32_e32 v135, v65, v117
	v_mul_f32_e32 v115, v64, v117
	;; [unrolled: 1-line block ×3, first 2 shown]
	s_wait_dscnt 0x1
	v_dual_mul_f32 v137, v69, v121 :: v_dual_mul_f32 v138, v67, v123
	s_wait_loadcnt 0x1
	v_dual_mul_f32 v119, v68, v121 :: v_dual_mul_f32 v140, v71, v127
	v_mul_f32_e32 v121, v66, v123
	v_mul_f32_e32 v123, v60, v125
	;; [unrolled: 1-line block ×3, first 2 shown]
	s_wait_loadcnt_dscnt 0x0
	v_mul_f32_e32 v141, v131, v129
	v_mul_f32_e32 v127, v130, v129
	v_fma_f32 v112, v62, v114, -v134
	v_fma_f32 v114, v64, v116, -v135
	v_fmac_f32_e32 v115, v65, v116
	v_fma_f32 v116, v58, v118, -v136
	v_fmac_f32_e32 v117, v59, v118
	;; [unrolled: 2-line block ×7, first 2 shown]
	ds_store_2addr_b64 v100, v[132:133], v[116:117] offset1:54
	ds_store_2addr_b64 v51, v[114:115], v[120:121] offset0:104 offset1:158
	ds_store_2addr_b64 v100, v[122:123], v[112:113] offset0:108 offset1:180
	;; [unrolled: 1-line block ×3, first 2 shown]
	ds_store_b64 v100, v[126:127] offset:3744
	s_and_saveexec_b32 s1, vcc_lo
	s_cbranch_execz .LBB0_17
; %bb.16:
	s_wait_alu 0xfffe
	v_add_co_u32 v56, s2, s2, v102
	s_wait_alu 0xf1ff
	v_add_co_ci_u32_e64 v57, null, s3, 0, s2
	s_clause 0x2
	global_load_b64 v[60:61], v[56:57], off offset:1296
	global_load_b64 v[62:63], v[56:57], off offset:2736
	;; [unrolled: 1-line block ×3, first 2 shown]
	ds_load_2addr_b64 v[56:59], v50 offset0:34 offset1:214
	ds_load_b64 v[66:67], v100 offset:4176
	s_wait_loadcnt_dscnt 0x201
	v_mul_f32_e32 v68, v57, v61
	s_wait_loadcnt 0x1
	v_dual_mul_f32 v69, v56, v61 :: v_dual_mul_f32 v70, v59, v63
	v_mul_f32_e32 v61, v58, v63
	s_wait_loadcnt_dscnt 0x0
	v_mul_f32_e32 v71, v67, v65
	v_mul_f32_e32 v63, v66, v65
	v_fma_f32 v68, v56, v60, -v68
	v_fmac_f32_e32 v69, v57, v60
	v_fma_f32 v60, v58, v62, -v70
	v_fmac_f32_e32 v61, v59, v62
	;; [unrolled: 2-line block ×3, first 2 shown]
	ds_store_2addr_b64 v50, v[68:69], v[60:61] offset0:34 offset1:214
	ds_store_b64 v100, v[62:63] offset:4176
.LBB0_17:
	s_wait_alu 0xfffe
	s_or_b32 exec_lo, exec_lo, s1
	global_wb scope:SCOPE_SE
	s_wait_dscnt 0x0
	s_barrier_signal -1
	s_barrier_wait -1
	global_inv scope:SCOPE_SE
	ds_load_2addr_b64 v[60:63], v100 offset1:54
	ds_load_2addr_b64 v[56:59], v100 offset0:108 offset1:180
	ds_load_2addr_b64 v[68:71], v51 offset0:104 offset1:158
	;; [unrolled: 1-line block ×3, first 2 shown]
	ds_load_b64 v[50:51], v100 offset:3744
	s_and_saveexec_b32 s1, vcc_lo
	s_cbranch_execz .LBB0_19
; %bb.18:
	v_add_nc_u32_e32 v48, 0x400, v100
	ds_load_2addr_b64 v[52:55], v48 offset0:34 offset1:214
	ds_load_b64 v[48:49], v100 offset:4176
.LBB0_19:
	s_wait_alu 0xfffe
	s_or_b32 exec_lo, exec_lo, s1
	s_wait_dscnt 0x2
	v_dual_add_f32 v102, v58, v68 :: v_dual_sub_f32 v113, v59, v69
	v_add_f32_e32 v112, v60, v58
	v_dual_add_f32 v114, v59, v69 :: v_dual_add_f32 v59, v61, v59
	s_delay_alu instid0(VALU_DEP_3)
	v_fma_f32 v60, -0.5, v102, v60
	s_wait_dscnt 0x1
	v_add_f32_e32 v102, v64, v70
	v_sub_f32_e32 v58, v58, v68
	v_fma_f32 v61, -0.5, v114, v61
	v_add_f32_e32 v112, v112, v68
	v_fmamk_f32 v114, v113, 0xbf5db3d7, v60
	v_fmac_f32_e32 v60, 0x3f5db3d7, v113
	v_add_f32_e32 v113, v59, v69
	v_add_f32_e32 v59, v62, v64
	v_fma_f32 v62, -0.5, v102, v62
	v_sub_f32_e32 v69, v65, v71
	global_wb scope:SCOPE_SE
	s_wait_dscnt 0x0
	s_barrier_signal -1
	v_add_f32_e32 v68, v59, v70
	v_add_f32_e32 v59, v63, v65
	v_fmamk_f32 v115, v58, 0x3f5db3d7, v61
	v_dual_fmac_f32 v61, 0xbf5db3d7, v58 :: v_dual_add_f32 v58, v65, v71
	v_dual_add_f32 v65, v66, v50 :: v_dual_fmamk_f32 v116, v69, 0xbf5db3d7, v62
	s_delay_alu instid0(VALU_DEP_4) | instskip(NEXT) | instid1(VALU_DEP_3)
	v_dual_fmac_f32 v62, 0x3f5db3d7, v69 :: v_dual_add_f32 v69, v59, v71
	v_fmac_f32_e32 v63, -0.5, v58
	v_sub_f32_e32 v58, v64, v70
	v_add_f32_e32 v59, v56, v66
	v_fma_f32 v56, -0.5, v65, v56
	v_sub_f32_e32 v65, v67, v51
	s_barrier_wait -1
	v_fmamk_f32 v117, v58, 0x3f5db3d7, v63
	v_dual_fmac_f32 v63, 0xbf5db3d7, v58 :: v_dual_add_f32 v58, v57, v67
	s_delay_alu instid0(VALU_DEP_3)
	v_fmamk_f32 v70, v65, 0xbf5db3d7, v56
	v_add_f32_e32 v64, v59, v50
	v_dual_add_f32 v59, v67, v51 :: v_dual_fmac_f32 v56, 0x3f5db3d7, v65
	v_add_f32_e32 v67, v54, v48
	global_inv scope:SCOPE_SE
	v_fmac_f32_e32 v57, -0.5, v59
	v_sub_f32_e32 v59, v55, v49
	v_add_f32_e32 v65, v58, v51
	v_dual_add_f32 v51, v55, v49 :: v_dual_sub_f32 v58, v66, v50
	v_fma_f32 v50, -0.5, v67, v52
	v_sub_f32_e32 v66, v54, v48
	s_delay_alu instid0(VALU_DEP_3) | instskip(NEXT) | instid1(VALU_DEP_4)
	v_fma_f32 v51, -0.5, v51, v53
	v_fmamk_f32 v71, v58, 0x3f5db3d7, v57
	s_delay_alu instid0(VALU_DEP_4) | instskip(NEXT) | instid1(VALU_DEP_3)
	v_dual_fmac_f32 v57, 0xbf5db3d7, v58 :: v_dual_fmamk_f32 v58, v59, 0xbf5db3d7, v50
	v_dual_fmac_f32 v50, 0x3f5db3d7, v59 :: v_dual_fmamk_f32 v59, v66, 0x3f5db3d7, v51
	v_fmac_f32_e32 v51, 0xbf5db3d7, v66
	ds_store_2addr_b64 v109, v[112:113], v[114:115] offset1:1
	ds_store_b64 v109, v[60:61] offset:16
	ds_store_2addr_b64 v108, v[68:69], v[116:117] offset1:1
	ds_store_b64 v108, v[62:63] offset:16
	;; [unrolled: 2-line block ×3, first 2 shown]
	s_and_saveexec_b32 s1, vcc_lo
	s_cbranch_execz .LBB0_21
; %bb.20:
	v_dual_add_f32 v53, v53, v55 :: v_dual_add_f32 v52, v52, v54
	v_lshl_add_u32 v54, v107, 3, v101
	s_delay_alu instid0(VALU_DEP_2)
	v_dual_add_f32 v49, v53, v49 :: v_dual_add_f32 v48, v52, v48
	ds_store_2addr_b64 v54, v[48:49], v[58:59] offset1:1
	ds_store_b64 v54, v[50:51] offset:16
.LBB0_21:
	s_wait_alu 0xfffe
	s_or_b32 exec_lo, exec_lo, s1
	global_wb scope:SCOPE_SE
	s_wait_dscnt 0x0
	s_barrier_signal -1
	s_barrier_wait -1
	global_inv scope:SCOPE_SE
	ds_load_2addr_b64 v[52:55], v100 offset1:54
	ds_load_2addr_b64 v[60:63], v100 offset0:108 offset1:162
	v_add_nc_u32_e32 v56, 0x400, v100
	s_wait_dscnt 0x1
	v_dual_mul_f32 v49, v13, v55 :: v_dual_add_nc_u32 v48, 0x800, v100
	v_mul_f32_e32 v13, v13, v54
	ds_load_2addr_b64 v[64:67], v56 offset0:88 offset1:142
	ds_load_2addr_b64 v[68:71], v48 offset0:68 offset1:122
	;; [unrolled: 1-line block ×3, first 2 shown]
	s_wait_dscnt 0x3
	v_dual_mul_f32 v57, v15, v61 :: v_dual_mul_f32 v102, v9, v63
	v_mul_f32_e32 v15, v15, v60
	v_mul_f32_e32 v9, v9, v62
	v_fmac_f32_e32 v49, v12, v54
	v_fma_f32 v13, v12, v55, -v13
	v_fmac_f32_e32 v102, v8, v62
	v_fma_f32 v12, v14, v61, -v15
	v_fmac_f32_e32 v57, v14, v60
	global_wb scope:SCOPE_SE
	s_wait_dscnt 0x0
	s_barrier_signal -1
	s_barrier_wait -1
	global_inv scope:SCOPE_SE
	v_dual_mul_f32 v14, v5, v67 :: v_dual_mul_f32 v15, v7, v69
	v_mul_f32_e32 v54, v94, v109
	v_fma_f32 v8, v8, v63, -v9
	v_mul_f32_e32 v9, v11, v65
	v_mul_f32_e32 v7, v7, v68
	v_fmac_f32_e32 v15, v6, v68
	v_fmac_f32_e32 v54, v93, v108
	s_delay_alu instid0(VALU_DEP_4) | instskip(NEXT) | instid1(VALU_DEP_4)
	v_dual_fmac_f32 v14, v4, v66 :: v_dual_fmac_f32 v9, v10, v64
	v_fma_f32 v6, v6, v69, -v7
	s_delay_alu instid0(VALU_DEP_2) | instskip(NEXT) | instid1(VALU_DEP_1)
	v_add_f32_e32 v7, v9, v15
	v_fma_f32 v60, -0.5, v7, v52
	v_mul_f32_e32 v5, v5, v66
	v_add_f32_e32 v66, v53, v12
	s_delay_alu instid0(VALU_DEP_2) | instskip(SKIP_2) | instid1(VALU_DEP_2)
	v_fma_f32 v4, v4, v67, -v5
	v_mul_f32_e32 v5, v3, v106
	v_mul_f32_e32 v3, v3, v107
	v_fma_f32 v5, v2, v107, -v5
	s_delay_alu instid0(VALU_DEP_2) | instskip(NEXT) | instid1(VALU_DEP_2)
	v_fmac_f32_e32 v3, v2, v106
	v_sub_f32_e32 v7, v12, v5
	s_delay_alu instid0(VALU_DEP_2) | instskip(NEXT) | instid1(VALU_DEP_2)
	v_add_f32_e32 v63, v57, v3
	v_dual_add_f32 v55, v52, v57 :: v_dual_fmamk_f32 v2, v7, 0xbf737871, v60
	v_mul_f32_e32 v11, v11, v64
	v_mul_f32_e32 v64, v94, v108
	v_fmac_f32_e32 v60, 0x3f737871, v7
	v_dual_sub_f32 v62, v3, v15 :: v_dual_sub_f32 v61, v57, v9
	s_delay_alu instid0(VALU_DEP_4) | instskip(SKIP_1) | instid1(VALU_DEP_3)
	v_fma_f32 v10, v10, v65, -v11
	v_sub_f32_e32 v65, v15, v3
	v_add_f32_e32 v61, v61, v62
	v_fma_f32 v62, -0.5, v63, v52
	v_fma_f32 v52, v93, v109, -v64
	v_sub_f32_e32 v64, v9, v57
	v_mul_f32_e32 v11, v1, v71
	v_mul_f32_e32 v1, v1, v70
	s_delay_alu instid0(VALU_DEP_3) | instskip(NEXT) | instid1(VALU_DEP_3)
	v_dual_add_f32 v67, v10, v6 :: v_dual_add_f32 v64, v64, v65
	v_fmac_f32_e32 v11, v0, v70
	s_delay_alu instid0(VALU_DEP_3) | instskip(SKIP_4) | instid1(VALU_DEP_4)
	v_fma_f32 v0, v0, v71, -v1
	v_add_f32_e32 v1, v55, v9
	v_sub_f32_e32 v55, v10, v6
	v_sub_f32_e32 v9, v9, v15
	v_fma_f32 v65, -0.5, v67, v53
	v_add_f32_e32 v1, v1, v15
	s_delay_alu instid0(VALU_DEP_4) | instskip(SKIP_3) | instid1(VALU_DEP_3)
	v_fmamk_f32 v63, v55, 0x3f737871, v62
	v_fmac_f32_e32 v62, 0xbf737871, v55
	v_fmac_f32_e32 v2, 0xbf167918, v55
	v_dual_fmac_f32 v60, 0x3f167918, v55 :: v_dual_add_f32 v55, v66, v10
	v_dual_sub_f32 v15, v12, v10 :: v_dual_fmac_f32 v62, 0x3f167918, v7
	v_sub_f32_e32 v10, v10, v12
	v_sub_f32_e32 v66, v11, v54
	s_delay_alu instid0(VALU_DEP_3) | instskip(SKIP_4) | instid1(VALU_DEP_4)
	v_fmac_f32_e32 v62, 0x3e9e377a, v64
	v_fmac_f32_e32 v63, 0xbf167918, v7
	v_add_f32_e32 v7, v55, v6
	v_dual_add_f32 v55, v12, v5 :: v_dual_sub_f32 v12, v54, v11
	v_fmac_f32_e32 v2, 0x3e9e377a, v61
	v_dual_fmac_f32 v60, 0x3e9e377a, v61 :: v_dual_fmac_f32 v63, 0x3e9e377a, v64
	v_sub_f32_e32 v61, v5, v6
	s_delay_alu instid0(VALU_DEP_4) | instskip(SKIP_2) | instid1(VALU_DEP_4)
	v_fma_f32 v64, -0.5, v55, v53
	v_add_f32_e32 v55, v7, v5
	v_dual_sub_f32 v5, v6, v5 :: v_dual_add_f32 v6, v49, v102
	v_add_f32_e32 v7, v15, v61
	s_delay_alu instid0(VALU_DEP_4) | instskip(SKIP_1) | instid1(VALU_DEP_4)
	v_fmamk_f32 v61, v9, 0xbf737871, v64
	v_dual_fmac_f32 v64, 0x3f737871, v9 :: v_dual_add_f32 v1, v1, v3
	v_dual_sub_f32 v3, v57, v3 :: v_dual_add_f32 v6, v6, v14
	v_add_f32_e32 v5, v10, v5
	v_sub_f32_e32 v53, v14, v102
	s_delay_alu instid0(VALU_DEP_3)
	v_fmamk_f32 v57, v3, 0x3f737871, v65
	v_fmac_f32_e32 v65, 0xbf737871, v3
	v_fmac_f32_e32 v61, 0x3f167918, v3
	;; [unrolled: 1-line block ×3, first 2 shown]
	v_add_f32_e32 v3, v6, v11
	v_fmac_f32_e32 v57, 0x3f167918, v9
	v_fmac_f32_e32 v65, 0xbf167918, v9
	v_add_f32_e32 v9, v14, v11
	v_add_f32_e32 v6, v102, v54
	s_delay_alu instid0(VALU_DEP_4) | instskip(NEXT) | instid1(VALU_DEP_4)
	v_dual_fmac_f32 v64, 0x3e9e377a, v5 :: v_dual_fmac_f32 v57, 0x3e9e377a, v7
	v_fmac_f32_e32 v65, 0x3e9e377a, v7
	s_delay_alu instid0(VALU_DEP_4)
	v_fma_f32 v7, -0.5, v9, v49
	v_sub_f32_e32 v9, v8, v52
	v_fmac_f32_e32 v49, -0.5, v6
	v_sub_f32_e32 v6, v102, v14
	v_add_f32_e32 v3, v3, v54
	v_fmac_f32_e32 v61, 0x3e9e377a, v5
	v_fmamk_f32 v10, v9, 0xbf737871, v7
	s_delay_alu instid0(VALU_DEP_4) | instskip(SKIP_3) | instid1(VALU_DEP_3)
	v_dual_fmac_f32 v7, 0x3f737871, v9 :: v_dual_add_f32 v6, v6, v12
	v_dual_add_f32 v12, v53, v66 :: v_dual_sub_f32 v5, v4, v0
	v_add_f32_e32 v53, v13, v8
	v_dual_sub_f32 v11, v14, v11 :: v_dual_sub_f32 v14, v0, v52
	v_fmac_f32_e32 v10, 0xbf167918, v5
	v_fmac_f32_e32 v7, 0x3f167918, v5
	v_fmamk_f32 v15, v5, 0x3f737871, v49
	v_fmac_f32_e32 v49, 0xbf737871, v5
	s_delay_alu instid0(VALU_DEP_4) | instskip(NEXT) | instid1(VALU_DEP_4)
	v_dual_add_f32 v5, v4, v0 :: v_dual_fmac_f32 v10, 0x3e9e377a, v6
	v_dual_fmac_f32 v7, 0x3e9e377a, v6 :: v_dual_add_f32 v6, v8, v52
	s_delay_alu instid0(VALU_DEP_4) | instskip(NEXT) | instid1(VALU_DEP_4)
	v_fmac_f32_e32 v15, 0xbf167918, v9
	v_fmac_f32_e32 v49, 0x3f167918, v9
	s_delay_alu instid0(VALU_DEP_4)
	v_fma_f32 v5, -0.5, v5, v13
	v_sub_f32_e32 v9, v102, v54
	v_fmac_f32_e32 v13, -0.5, v6
	v_fmac_f32_e32 v15, 0x3e9e377a, v12
	v_fmac_f32_e32 v49, 0x3e9e377a, v12
	v_sub_f32_e32 v6, v8, v4
	v_fmamk_f32 v54, v9, 0x3f737871, v5
	v_sub_f32_e32 v12, v52, v0
	v_fmamk_f32 v66, v11, 0xbf737871, v13
	v_dual_sub_f32 v8, v4, v8 :: v_dual_fmac_f32 v13, 0x3f737871, v11
	s_delay_alu instid0(VALU_DEP_4) | instskip(NEXT) | instid1(VALU_DEP_4)
	v_fmac_f32_e32 v54, 0x3f167918, v11
	v_add_f32_e32 v6, v6, v12
	s_delay_alu instid0(VALU_DEP_4) | instskip(NEXT) | instid1(VALU_DEP_4)
	v_fmac_f32_e32 v66, 0x3f167918, v9
	v_dual_add_f32 v8, v8, v14 :: v_dual_fmac_f32 v5, 0xbf737871, v9
	v_fmac_f32_e32 v13, 0xbf167918, v9
	s_delay_alu instid0(VALU_DEP_4) | instskip(SKIP_1) | instid1(VALU_DEP_4)
	v_fmac_f32_e32 v54, 0x3e9e377a, v6
	v_add_f32_e32 v4, v53, v4
	v_fmac_f32_e32 v66, 0x3e9e377a, v8
	v_fmac_f32_e32 v5, 0xbf167918, v11
	;; [unrolled: 1-line block ×3, first 2 shown]
	v_mul_f32_e32 v8, 0xbf167918, v54
	s_delay_alu instid0(VALU_DEP_4) | instskip(NEXT) | instid1(VALU_DEP_4)
	v_dual_add_f32 v0, v4, v0 :: v_dual_mul_f32 v9, 0xbf737871, v66
	v_fmac_f32_e32 v5, 0x3e9e377a, v6
	v_mul_f32_e32 v69, 0x3f4f1bbd, v54
	v_mul_f32_e32 v11, 0xbf737871, v13
	;; [unrolled: 1-line block ×4, first 2 shown]
	v_fmac_f32_e32 v8, 0x3f4f1bbd, v10
	v_fmac_f32_e32 v9, 0x3e9e377a, v15
	v_mul_f32_e32 v68, 0xbf167918, v5
	v_mul_f32_e32 v71, 0xbf4f1bbd, v5
	v_add_f32_e32 v67, v0, v52
	v_fmac_f32_e32 v69, 0x3f167918, v10
	v_fmac_f32_e32 v11, 0xbe9e377a, v49
	;; [unrolled: 1-line block ×4, first 2 shown]
	v_add_f32_e32 v6, v2, v8
	v_sub_f32_e32 v0, v2, v8
	v_sub_f32_e32 v2, v63, v9
	v_fmac_f32_e32 v68, 0xbf4f1bbd, v7
	v_fmac_f32_e32 v71, 0x3f167918, v7
	v_add_f32_e32 v4, v1, v3
	v_add_f32_e32 v5, v55, v67
	s_delay_alu instid0(VALU_DEP_4)
	v_dual_add_f32 v7, v57, v69 :: v_dual_sub_f32 v10, v60, v68
	v_add_f32_e32 v12, v63, v9
	v_dual_add_f32 v14, v62, v11 :: v_dual_add_f32 v13, v61, v66
	v_add_f32_e32 v15, v64, v70
	v_dual_add_f32 v52, v60, v68 :: v_dual_add_f32 v53, v65, v71
	v_sub_f32_e32 v54, v1, v3
	v_sub_f32_e32 v55, v55, v67
	;; [unrolled: 1-line block ×3, first 2 shown]
	v_dual_sub_f32 v3, v61, v66 :: v_dual_sub_f32 v8, v62, v11
	v_sub_f32_e32 v9, v64, v70
	v_sub_f32_e32 v11, v65, v71
	ds_store_2addr_b64 v105, v[4:5], v[6:7] offset1:3
	ds_store_2addr_b64 v105, v[12:13], v[14:15] offset0:6 offset1:9
	ds_store_2addr_b64 v105, v[52:53], v[54:55] offset0:12 offset1:15
	ds_store_2addr_b64 v105, v[0:1], v[2:3] offset0:18 offset1:21
	ds_store_2addr_b64 v105, v[8:9], v[10:11] offset0:24 offset1:27
	global_wb scope:SCOPE_SE
	s_wait_dscnt 0x0
	s_barrier_signal -1
	s_barrier_wait -1
	global_inv scope:SCOPE_SE
	ds_load_2addr_b64 v[4:7], v100 offset1:90
	ds_load_2addr_b64 v[52:55], v56 offset0:52 offset1:142
	ds_load_2addr_b64 v[12:15], v48 offset0:104 offset1:194
	s_and_saveexec_b32 s1, s0
	s_cbranch_execz .LBB0_23
; %bb.22:
	ds_load_2addr_b64 v[48:51], v48 offset0:158 offset1:248
	ds_load_2addr_b64 v[0:3], v100 offset0:54 offset1:144
	;; [unrolled: 1-line block ×3, first 2 shown]
	s_wait_dscnt 0x2
	v_dual_mov_b32 v58, v48 :: v_dual_mov_b32 v59, v49
.LBB0_23:
	s_wait_alu 0xfffe
	s_or_b32 exec_lo, exec_lo, s1
	s_wait_dscnt 0x1
	v_dual_mul_f32 v48, v25, v7 :: v_dual_mul_f32 v49, v27, v53
	v_mul_f32_e32 v25, v25, v6
	v_mul_f32_e32 v27, v27, v52
	global_wb scope:SCOPE_SE
	s_wait_dscnt 0x0
	v_dual_fmac_f32 v48, v24, v6 :: v_dual_fmac_f32 v49, v26, v52
	v_fma_f32 v6, v24, v7, -v25
	v_mul_f32_e32 v24, v33, v54
	v_fma_f32 v25, v26, v53, -v27
	v_dual_mul_f32 v26, v35, v13 :: v_dual_mul_f32 v7, v33, v55
	v_mul_f32_e32 v27, v35, v12
	s_delay_alu instid0(VALU_DEP_4) | instskip(SKIP_1) | instid1(VALU_DEP_3)
	v_fma_f32 v24, v32, v55, -v24
	s_barrier_signal -1
	v_fmac_f32_e32 v26, v34, v12
	v_mul_f32_e32 v12, v98, v14
	v_dual_fmac_f32 v7, v32, v54 :: v_dual_mul_f32 v32, v98, v15
	v_fma_f32 v13, v34, v13, -v27
	v_mul_f32_e32 v34, v29, v3
	s_delay_alu instid0(VALU_DEP_4) | instskip(NEXT) | instid1(VALU_DEP_4)
	v_fma_f32 v12, v97, v15, -v12
	v_dual_mul_f32 v15, v31, v9 :: v_dual_fmac_f32 v32, v97, v14
	v_mul_f32_e32 v14, v29, v2
	s_delay_alu instid0(VALU_DEP_4) | instskip(SKIP_1) | instid1(VALU_DEP_4)
	v_fmac_f32_e32 v34, v28, v2
	v_mul_f32_e32 v2, v31, v8
	v_dual_fmac_f32 v15, v30, v8 :: v_dual_mul_f32 v8, v21, v10
	s_barrier_wait -1
	global_inv scope:SCOPE_SE
	v_fma_f32 v2, v30, v9, -v2
	v_mul_f32_e32 v9, v23, v59
	v_fma_f32 v3, v28, v3, -v14
	v_mul_f32_e32 v14, v21, v11
	v_fma_f32 v11, v20, v11, -v8
	v_add_f32_e32 v21, v49, v26
	v_fmac_f32_e32 v9, v22, v58
	v_mul_f32_e32 v8, v96, v50
	v_fmac_f32_e32 v14, v20, v10
	v_mul_f32_e32 v10, v23, v58
	v_dual_mul_f32 v20, v96, v51 :: v_dual_add_f32 v23, v6, v24
	s_delay_alu instid0(VALU_DEP_2) | instskip(SKIP_2) | instid1(VALU_DEP_2)
	v_fma_f32 v10, v22, v59, -v10
	v_add_f32_e32 v22, v4, v49
	v_fma_f32 v4, -0.5, v21, v4
	v_dual_sub_f32 v21, v25, v13 :: v_dual_add_f32 v28, v22, v26
	v_add_f32_e32 v22, v5, v25
	s_delay_alu instid0(VALU_DEP_2) | instskip(SKIP_1) | instid1(VALU_DEP_1)
	v_fmamk_f32 v29, v21, 0xbf5db3d7, v4
	v_dual_fmac_f32 v4, 0x3f5db3d7, v21 :: v_dual_add_f32 v21, v24, v12
	v_dual_fmac_f32 v6, -0.5, v21 :: v_dual_sub_f32 v21, v7, v32
	v_fma_f32 v35, v95, v51, -v8
	v_add_f32_e32 v8, v25, v13
	v_dual_add_f32 v13, v22, v13 :: v_dual_add_f32 v22, v7, v32
	v_add_f32_e32 v7, v48, v7
	s_delay_alu instid0(VALU_DEP_3) | instskip(NEXT) | instid1(VALU_DEP_3)
	v_fma_f32 v5, -0.5, v8, v5
	v_fmac_f32_e32 v48, -0.5, v22
	v_sub_f32_e32 v22, v24, v12
	v_sub_f32_e32 v8, v49, v26
	v_fmac_f32_e32 v20, v95, v50
	v_add_f32_e32 v7, v7, v32
	s_delay_alu instid0(VALU_DEP_3)
	v_dual_add_f32 v12, v23, v12 :: v_dual_fmamk_f32 v31, v8, 0x3f5db3d7, v5
	v_fmac_f32_e32 v5, 0xbf5db3d7, v8
	v_fmamk_f32 v8, v21, 0x3f5db3d7, v6
	v_fmac_f32_e32 v6, 0xbf5db3d7, v21
	v_fmamk_f32 v21, v22, 0xbf5db3d7, v48
	v_add_f32_e32 v23, v13, v12
	s_delay_alu instid0(VALU_DEP_4) | instskip(SKIP_3) | instid1(VALU_DEP_3)
	v_mul_f32_e32 v30, 0xbf5db3d7, v8
	v_mul_f32_e32 v8, 0.5, v8
	v_mul_f32_e32 v32, 0xbf5db3d7, v6
	v_mul_f32_e32 v6, -0.5, v6
	v_fmac_f32_e32 v8, 0x3f5db3d7, v21
	s_delay_alu instid0(VALU_DEP_1) | instskip(SKIP_3) | instid1(VALU_DEP_3)
	v_add_f32_e32 v25, v31, v8
	v_dual_sub_f32 v31, v31, v8 :: v_dual_fmac_f32 v48, 0x3f5db3d7, v22
	v_add_f32_e32 v22, v28, v7
	v_sub_f32_e32 v28, v28, v7
	v_dual_add_f32 v7, v0, v15 :: v_dual_fmac_f32 v32, -0.5, v48
	v_fmac_f32_e32 v6, 0x3f5db3d7, v48
	s_delay_alu instid0(VALU_DEP_2) | instskip(SKIP_1) | instid1(VALU_DEP_3)
	v_add_f32_e32 v26, v4, v32
	v_sub_f32_e32 v32, v4, v32
	v_dual_add_f32 v4, v15, v9 :: v_dual_add_f32 v27, v5, v6
	v_sub_f32_e32 v33, v5, v6
	v_dual_add_f32 v5, v2, v10 :: v_dual_add_f32 v6, v7, v9
	s_delay_alu instid0(VALU_DEP_3) | instskip(SKIP_1) | instid1(VALU_DEP_3)
	v_fmac_f32_e32 v0, -0.5, v4
	v_sub_f32_e32 v4, v2, v10
	v_dual_add_f32 v2, v1, v2 :: v_dual_fmac_f32 v1, -0.5, v5
	v_sub_f32_e32 v5, v15, v9
	v_add_f32_e32 v15, v3, v11
	s_delay_alu instid0(VALU_DEP_4) | instskip(SKIP_4) | instid1(VALU_DEP_3)
	v_fmamk_f32 v7, v4, 0xbf5db3d7, v0
	v_fmac_f32_e32 v0, 0x3f5db3d7, v4
	v_add_f32_e32 v4, v11, v35
	v_add_f32_e32 v8, v2, v10
	v_dual_add_f32 v2, v14, v20 :: v_dual_fmamk_f32 v9, v5, 0x3f5db3d7, v1
	v_dual_add_f32 v10, v34, v14 :: v_dual_fmac_f32 v3, -0.5, v4
	v_sub_f32_e32 v4, v14, v20
	v_fmac_f32_e32 v30, 0.5, v21
	s_delay_alu instid0(VALU_DEP_4) | instskip(SKIP_1) | instid1(VALU_DEP_4)
	v_fmac_f32_e32 v34, -0.5, v2
	v_dual_sub_f32 v2, v11, v35 :: v_dual_fmac_f32 v1, 0xbf5db3d7, v5
	v_fmamk_f32 v5, v4, 0x3f5db3d7, v3
	s_delay_alu instid0(VALU_DEP_4) | instskip(NEXT) | instid1(VALU_DEP_3)
	v_dual_fmac_f32 v3, 0xbf5db3d7, v4 :: v_dual_add_f32 v24, v29, v30
	v_fmamk_f32 v4, v2, 0xbf5db3d7, v34
	v_sub_f32_e32 v30, v29, v30
	v_dual_sub_f32 v29, v13, v12 :: v_dual_fmac_f32 v34, 0x3f5db3d7, v2
	s_delay_alu instid0(VALU_DEP_4) | instskip(SKIP_2) | instid1(VALU_DEP_3)
	v_dual_mul_f32 v11, 0xbf5db3d7, v5 :: v_dual_mul_f32 v12, 0xbf5db3d7, v3
	v_mul_f32_e32 v13, 0.5, v5
	v_dual_mul_f32 v21, -0.5, v3 :: v_dual_add_f32 v10, v10, v20
	v_dual_add_f32 v20, v15, v35 :: v_dual_fmac_f32 v11, 0.5, v4
	s_delay_alu instid0(VALU_DEP_3) | instskip(NEXT) | instid1(VALU_DEP_3)
	v_dual_fmac_f32 v13, 0x3f5db3d7, v4 :: v_dual_fmac_f32 v12, -0.5, v34
	v_fmac_f32_e32 v21, 0x3f5db3d7, v34
	s_delay_alu instid0(VALU_DEP_4) | instskip(NEXT) | instid1(VALU_DEP_4)
	v_sub_f32_e32 v2, v6, v10
	v_dual_sub_f32 v4, v7, v11 :: v_dual_sub_f32 v3, v8, v20
	s_delay_alu instid0(VALU_DEP_4) | instskip(NEXT) | instid1(VALU_DEP_4)
	v_dual_sub_f32 v14, v0, v12 :: v_dual_sub_f32 v5, v9, v13
	v_sub_f32_e32 v15, v1, v21
	ds_store_2addr_b64 v110, v[22:23], v[24:25] offset1:30
	ds_store_2addr_b64 v110, v[26:27], v[28:29] offset0:60 offset1:90
	ds_store_2addr_b64 v110, v[30:31], v[32:33] offset0:120 offset1:150
	s_and_saveexec_b32 s1, s0
	s_cbranch_execz .LBB0_25
; %bb.24:
	v_dual_add_f32 v1, v1, v21 :: v_dual_and_b32 v22, 0xffff, v103
	v_dual_add_f32 v21, v8, v20 :: v_dual_add_f32 v8, v7, v11
	v_add_f32_e32 v20, v6, v10
	s_delay_alu instid0(VALU_DEP_3) | instskip(SKIP_1) | instid1(VALU_DEP_2)
	v_mul_u32_u24_e32 v22, 0xb4, v22
	v_dual_add_f32 v0, v0, v12 :: v_dual_add_f32 v9, v9, v13
	v_add_nc_u32_e32 v22, v22, v104
	s_delay_alu instid0(VALU_DEP_1)
	v_lshl_add_u32 v6, v22, 3, v101
	ds_store_2addr_b64 v6, v[20:21], v[8:9] offset1:30
	ds_store_2addr_b64 v6, v[0:1], v[2:3] offset0:60 offset1:90
	ds_store_2addr_b64 v6, v[4:5], v[14:15] offset0:120 offset1:150
.LBB0_25:
	s_wait_alu 0xfffe
	s_or_b32 exec_lo, exec_lo, s1
	v_add_nc_u32_e32 v0, 0x800, v100
	v_add_nc_u32_e32 v28, 0x400, v100
	global_wb scope:SCOPE_SE
	s_wait_dscnt 0x0
	s_barrier_signal -1
	s_barrier_wait -1
	global_inv scope:SCOPE_SE
	ds_load_2addr_b64 v[10:13], v100 offset1:54
	ds_load_2addr_b64 v[6:9], v100 offset0:108 offset1:180
	ds_load_2addr_b64 v[24:27], v0 offset0:104 offset1:158
	;; [unrolled: 1-line block ×3, first 2 shown]
	ds_load_b64 v[0:1], v100 offset:3744
	v_add_nc_u32_e32 v29, 0x360, v111
	s_and_saveexec_b32 s0, vcc_lo
	s_cbranch_execz .LBB0_27
; %bb.26:
	ds_load_2addr_b64 v[2:5], v28 offset0:34 offset1:214
	ds_load_b64 v[14:15], v100 offset:4176
.LBB0_27:
	s_wait_alu 0xfffe
	s_or_b32 exec_lo, exec_lo, s0
	s_wait_dscnt 0x2
	v_dual_mul_f32 v30, v45, v9 :: v_dual_mul_f32 v33, v47, v24
	v_dual_mul_f32 v31, v45, v8 :: v_dual_mul_f32 v32, v47, v25
	s_delay_alu instid0(VALU_DEP_2) | instskip(NEXT) | instid1(VALU_DEP_2)
	v_dual_fmac_f32 v30, v44, v8 :: v_dual_add_nc_u32 v29, 0x400, v29
	v_fma_f32 v9, v44, v9, -v31
	s_wait_dscnt 0x1
	s_delay_alu instid0(VALU_DEP_3) | instskip(SKIP_2) | instid1(VALU_DEP_3)
	v_dual_mul_f32 v31, v41, v21 :: v_dual_fmac_f32 v32, v46, v24
	v_fma_f32 v24, v46, v25, -v33
	v_dual_mul_f32 v25, v43, v27 :: v_dual_mul_f32 v8, v41, v20
	v_dual_fmac_f32 v31, v40, v20 :: v_dual_mul_f32 v20, v43, v26
	v_mul_f32_e32 v33, v37, v23
	s_delay_alu instid0(VALU_DEP_3) | instskip(NEXT) | instid1(VALU_DEP_4)
	v_fmac_f32_e32 v25, v42, v26
	v_fma_f32 v21, v40, v21, -v8
	v_mul_f32_e32 v8, v37, v22
	v_fma_f32 v26, v42, v27, -v20
	s_wait_dscnt 0x0
	v_mul_f32_e32 v27, v39, v1
	v_dual_mul_f32 v20, v39, v0 :: v_dual_fmac_f32 v33, v36, v22
	v_fma_f32 v34, v36, v23, -v8
	v_add_f32_e32 v8, v30, v32
	v_add_f32_e32 v22, v10, v30
	s_delay_alu instid0(VALU_DEP_4)
	v_fma_f32 v35, v38, v1, -v20
	v_add_f32_e32 v1, v9, v24
	v_dual_sub_f32 v20, v9, v24 :: v_dual_add_f32 v9, v11, v9
	v_fmac_f32_e32 v27, v38, v0
	v_fma_f32 v0, -0.5, v8, v10
	v_dual_add_f32 v8, v22, v32 :: v_dual_add_f32 v23, v12, v31
	v_fma_f32 v1, -0.5, v1, v11
	v_sub_f32_e32 v22, v30, v32
	s_delay_alu instid0(VALU_DEP_4) | instskip(SKIP_2) | instid1(VALU_DEP_4)
	v_fmamk_f32 v10, v20, 0xbf5db3d7, v0
	v_fmac_f32_e32 v0, 0x3f5db3d7, v20
	v_dual_add_f32 v9, v9, v24 :: v_dual_add_f32 v20, v31, v25
	v_fmamk_f32 v11, v22, 0x3f5db3d7, v1
	v_fmac_f32_e32 v1, 0xbf5db3d7, v22
	v_add_f32_e32 v22, v21, v26
	v_sub_f32_e32 v30, v34, v35
	v_fma_f32 v12, -0.5, v20, v12
	v_add_f32_e32 v20, v23, v25
	v_dual_sub_f32 v25, v31, v25 :: v_dual_sub_f32 v24, v21, v26
	v_add_f32_e32 v21, v13, v21
	v_fmac_f32_e32 v13, -0.5, v22
	v_dual_add_f32 v31, v7, v34 :: v_dual_sub_f32 v32, v33, v27
	s_delay_alu instid0(VALU_DEP_3) | instskip(NEXT) | instid1(VALU_DEP_3)
	v_add_f32_e32 v21, v21, v26
	v_dual_fmamk_f32 v23, v25, 0x3f5db3d7, v13 :: v_dual_add_f32 v26, v6, v33
	v_dual_fmac_f32 v13, 0xbf5db3d7, v25 :: v_dual_fmamk_f32 v22, v24, 0xbf5db3d7, v12
	v_fmac_f32_e32 v12, 0x3f5db3d7, v24
	v_add_f32_e32 v24, v33, v27
	s_delay_alu instid0(VALU_DEP_1) | instskip(SKIP_2) | instid1(VALU_DEP_3)
	v_fma_f32 v6, -0.5, v24, v6
	v_add_f32_e32 v25, v34, v35
	v_add_f32_e32 v24, v26, v27
	v_fmamk_f32 v26, v30, 0xbf5db3d7, v6
	s_delay_alu instid0(VALU_DEP_3) | instskip(SKIP_1) | instid1(VALU_DEP_2)
	v_dual_fmac_f32 v6, 0x3f5db3d7, v30 :: v_dual_fmac_f32 v7, -0.5, v25
	v_add_f32_e32 v25, v31, v35
	v_fmamk_f32 v27, v32, 0x3f5db3d7, v7
	v_fmac_f32_e32 v7, 0xbf5db3d7, v32
	ds_store_2addr_b64 v100, v[8:9], v[20:21] offset1:54
	ds_store_2addr_b64 v28, v[22:23], v[0:1] offset0:106 offset1:232
	ds_store_b64 v100, v[12:13] offset:3312
	ds_store_2addr_b64 v100, v[24:25], v[10:11] offset0:108 offset1:180
	ds_store_2addr_b64 v29, v[26:27], v[6:7] offset0:52 offset1:232
	s_and_saveexec_b32 s0, vcc_lo
	s_cbranch_execz .LBB0_29
; %bb.28:
	v_dual_mul_f32 v0, v17, v4 :: v_dual_mul_f32 v1, v19, v14
	v_dual_mul_f32 v6, v17, v5 :: v_dual_mul_f32 v7, v19, v15
	s_delay_alu instid0(VALU_DEP_2) | instskip(NEXT) | instid1(VALU_DEP_3)
	v_fma_f32 v0, v16, v5, -v0
	v_fma_f32 v5, v18, v15, -v1
	s_delay_alu instid0(VALU_DEP_3) | instskip(NEXT) | instid1(VALU_DEP_3)
	v_dual_fmac_f32 v6, v16, v4 :: v_dual_fmac_f32 v7, v18, v14
	v_add_f32_e32 v9, v3, v0
	s_delay_alu instid0(VALU_DEP_2) | instskip(SKIP_2) | instid1(VALU_DEP_3)
	v_dual_add_f32 v1, v0, v5 :: v_dual_sub_f32 v4, v6, v7
	v_add_f32_e32 v8, v6, v7
	v_add_f32_e32 v6, v2, v6
	v_fma_f32 v1, -0.5, v1, v3
	v_add_f32_e32 v3, v9, v5
	v_sub_f32_e32 v10, v0, v5
	v_fma_f32 v0, -0.5, v8, v2
	s_delay_alu instid0(VALU_DEP_4) | instskip(SKIP_2) | instid1(VALU_DEP_4)
	v_dual_add_f32 v2, v6, v7 :: v_dual_fmamk_f32 v5, v4, 0xbf5db3d7, v1
	v_fmac_f32_e32 v1, 0x3f5db3d7, v4
	v_add_nc_u32_e32 v6, 0x400, v100
	v_fmamk_f32 v4, v10, 0x3f5db3d7, v0
	v_fmac_f32_e32 v0, 0xbf5db3d7, v10
	ds_store_2addr_b64 v6, v[2:3], v[0:1] offset0:34 offset1:214
	ds_store_b64 v100, v[4:5] offset:4176
.LBB0_29:
	s_wait_alu 0xfffe
	s_or_b32 exec_lo, exec_lo, s0
	global_wb scope:SCOPE_SE
	s_wait_dscnt 0x0
	s_barrier_signal -1
	s_barrier_wait -1
	global_inv scope:SCOPE_SE
	ds_load_2addr_b64 v[3:6], v100 offset1:54
	ds_load_2addr_b64 v[7:10], v100 offset0:108 offset1:180
	v_add_nc_u32_e32 v0, 0x800, v100
	v_add_nc_u32_e32 v2, 0x400, v100
	v_mad_co_u64_u32 v[39:40], null, s4, v99, 0
	s_mov_b32 s2, 0xc901e574
	s_mov_b32 s3, 0x3f5e573a
	s_wait_dscnt 0x1
	v_mul_f32_e32 v25, v80, v6
	s_wait_dscnt 0x0
	v_mul_f32_e32 v23, v88, v10
	ds_load_2addr_b64 v[11:14], v0 offset0:104 offset1:158
	ds_load_b64 v[19:20], v100 offset:3744
	ds_load_2addr_b64 v[15:18], v2 offset0:106 offset1:160
	v_dual_mul_f32 v21, v78, v4 :: v_dual_mul_f32 v24, v88, v9
	v_dual_mul_f32 v22, v78, v3 :: v_dual_fmac_f32 v23, v87, v9
	s_delay_alu instid0(VALU_DEP_2) | instskip(SKIP_1) | instid1(VALU_DEP_3)
	v_dual_mul_f32 v26, v80, v5 :: v_dual_fmac_f32 v21, v77, v3
	v_mad_co_u64_u32 v[0:1], null, s6, v72, 0
	v_fma_f32 v22, v77, v4, -v22
	v_fma_f32 v24, v87, v10, -v24
	v_fmac_f32_e32 v25, v79, v5
	v_fma_f32 v28, v79, v6, -v26
	v_cvt_f64_f32_e32 v[3:4], v21
	v_cvt_f64_f32_e32 v[5:6], v22
	v_mad_co_u64_u32 v[41:42], null, s7, v72, v[1:2]
	v_mov_b32_e32 v1, v40
	s_wait_dscnt 0x1
	v_dual_mul_f32 v33, v82, v8 :: v_dual_mul_f32 v38, v92, v19
	s_wait_dscnt 0x0
	v_dual_mul_f32 v27, v86, v12 :: v_dual_mul_f32 v30, v76, v15
	v_dual_mul_f32 v9, v86, v11 :: v_dual_mul_f32 v32, v84, v13
	v_mad_co_u64_u32 v[42:43], null, s5, v99, v[1:2]
	s_delay_alu instid0(VALU_DEP_3) | instskip(NEXT) | instid1(VALU_DEP_3)
	v_dual_fmac_f32 v27, v85, v11 :: v_dual_mul_f32 v36, v90, v17
	v_fma_f32 v26, v85, v12, -v9
	v_cvt_f64_f32_e32 v[9:10], v23
	v_cvt_f64_f32_e32 v[11:12], v24
	v_dual_mul_f32 v29, v76, v16 :: v_dual_mov_b32 v40, v42
	v_mul_f32_e32 v31, v84, v14
	v_fmac_f32_e32 v33, v81, v7
	v_mul_f32_e32 v7, v82, v7
	v_mul_f32_e32 v35, v90, v18
	;; [unrolled: 1-line block ×3, first 2 shown]
	v_fmac_f32_e32 v29, v75, v15
	v_fma_f32 v15, v75, v16, -v30
	v_fmac_f32_e32 v31, v83, v13
	v_fma_f32 v32, v83, v14, -v32
	v_fma_f32 v7, v81, v8, -v7
	;; [unrolled: 1-line block ×3, first 2 shown]
	v_fmac_f32_e32 v35, v89, v17
	v_fmac_f32_e32 v37, v91, v19
	v_fma_f32 v38, v91, v20, -v38
	v_cvt_f64_f32_e32 v[21:22], v25
	v_cvt_f64_f32_e32 v[23:24], v27
	v_cvt_f64_f32_e32 v[25:26], v26
	v_cvt_f64_f32_e32 v[27:28], v28
	v_cvt_f64_f32_e32 v[13:14], v29
	v_cvt_f64_f32_e32 v[15:16], v15
	v_cvt_f64_f32_e32 v[29:30], v31
	v_cvt_f64_f32_e32 v[31:32], v32
	v_cvt_f64_f32_e32 v[7:8], v7
	v_cvt_f64_f32_e32 v[19:20], v36
	v_cvt_f64_f32_e32 v[33:34], v33
	v_cvt_f64_f32_e32 v[17:18], v35
	v_cvt_f64_f32_e32 v[35:36], v37
	v_cvt_f64_f32_e32 v[37:38], v38
	s_wait_alu 0xfffe
	v_mul_f64_e32 v[3:4], s[2:3], v[3:4]
	v_mul_f64_e32 v[5:6], s[2:3], v[5:6]
	v_mov_b32_e32 v1, v41
	v_lshlrev_b64_e32 v[39:40], 3, v[39:40]
	v_mul_f64_e32 v[9:10], s[2:3], v[9:10]
	v_mul_f64_e32 v[11:12], s[2:3], v[11:12]
	s_delay_alu instid0(VALU_DEP_4) | instskip(NEXT) | instid1(VALU_DEP_1)
	v_lshlrev_b64_e32 v[0:1], 3, v[0:1]
	v_add_co_u32 v41, s0, s8, v0
	s_wait_alu 0xf1ff
	s_delay_alu instid0(VALU_DEP_2)
	v_add_co_ci_u32_e64 v42, s0, s9, v1, s0
	v_mul_f64_e32 v[21:22], s[2:3], v[21:22]
	v_mul_f64_e32 v[23:24], s[2:3], v[23:24]
	;; [unrolled: 1-line block ×14, first 2 shown]
	v_cvt_f32_f64_e32 v0, v[3:4]
	v_cvt_f32_f64_e32 v1, v[5:6]
	v_add_co_u32 v3, s0, v41, v39
	s_wait_alu 0xf1ff
	v_add_co_ci_u32_e64 v4, s0, v42, v40, s0
	v_cvt_f32_f64_e32 v5, v[9:10]
	v_cvt_f32_f64_e32 v6, v[11:12]
	s_mul_u64 s[0:1], s[4:5], 0xb4
	s_wait_alu 0xfffe
	s_lshl_b64 s[6:7], s[0:1], 3
	s_wait_alu 0xfffe
	v_add_co_u32 v9, s0, v3, s6
	s_wait_alu 0xf1ff
	v_add_co_ci_u32_e64 v10, s0, s7, v4, s0
	s_movk_i32 s0, 0xfece
	s_mov_b32 s1, -1
	s_wait_alu 0xfffe
	s_mul_u64 s[4:5], s[4:5], s[0:1]
	s_wait_alu 0xfffe
	s_lshl_b64 s[4:5], s[4:5], 3
	v_cvt_f32_f64_e32 v21, v[21:22]
	v_cvt_f32_f64_e32 v11, v[23:24]
	;; [unrolled: 1-line block ×10, first 2 shown]
	v_add_co_u32 v19, s0, v9, s6
	v_cvt_f32_f64_e32 v23, v[33:34]
	v_cvt_f32_f64_e32 v7, v[17:18]
	s_wait_alu 0xf1ff
	v_add_co_ci_u32_e64 v20, s0, s7, v10, s0
	v_cvt_f32_f64_e32 v17, v[35:36]
	v_cvt_f32_f64_e32 v18, v[37:38]
	s_wait_alu 0xfffe
	v_add_co_u32 v25, s0, v19, s4
	s_wait_alu 0xf1ff
	v_add_co_ci_u32_e64 v26, s0, s5, v20, s0
	global_store_b64 v[3:4], v[0:1], off
	v_add_co_u32 v27, s0, v25, s6
	s_wait_alu 0xf1ff
	v_add_co_ci_u32_e64 v28, s0, s7, v26, s0
	global_store_b64 v[9:10], v[5:6], off
	v_add_co_u32 v3, s0, v27, s6
	s_wait_alu 0xf1ff
	v_add_co_ci_u32_e64 v4, s0, s7, v28, s0
	s_delay_alu instid0(VALU_DEP_2) | instskip(SKIP_1) | instid1(VALU_DEP_2)
	v_add_co_u32 v5, s0, v3, s4
	s_wait_alu 0xf1ff
	v_add_co_ci_u32_e64 v6, s0, s5, v4, s0
	s_delay_alu instid0(VALU_DEP_2) | instskip(SKIP_1) | instid1(VALU_DEP_2)
	v_add_co_u32 v9, s0, v5, s6
	s_wait_alu 0xf1ff
	v_add_co_ci_u32_e64 v10, s0, s7, v6, s0
	global_store_b64 v[19:20], v[11:12], off
	v_add_co_u32 v0, s0, v9, s6
	s_wait_alu 0xf1ff
	v_add_co_ci_u32_e64 v1, s0, s7, v10, s0
	s_clause 0x1
	global_store_b64 v[25:26], v[21:22], off
	global_store_b64 v[27:28], v[13:14], off
	global_store_b64 v[3:4], v[15:16], off
	global_store_b64 v[5:6], v[23:24], off
	global_store_b64 v[9:10], v[7:8], off
	global_store_b64 v[0:1], v[17:18], off
	s_and_b32 exec_lo, exec_lo, vcc_lo
	s_cbranch_execz .LBB0_31
; %bb.30:
	s_clause 0x2
	global_load_b64 v[6:7], v[73:74], off offset:1296
	global_load_b64 v[8:9], v[73:74], off offset:2736
	;; [unrolled: 1-line block ×3, first 2 shown]
	ds_load_2addr_b64 v[2:5], v2 offset0:34 offset1:214
	ds_load_b64 v[12:13], v100 offset:4176
	v_add_co_u32 v0, vcc_lo, v0, s4
	s_wait_alu 0xfffd
	v_add_co_ci_u32_e32 v1, vcc_lo, s5, v1, vcc_lo
	s_wait_loadcnt_dscnt 0x101
	v_dual_mul_f32 v14, v3, v7 :: v_dual_mul_f32 v15, v5, v9
	s_wait_loadcnt_dscnt 0x0
	v_dual_mul_f32 v9, v4, v9 :: v_dual_mul_f32 v16, v13, v11
	v_mul_f32_e32 v7, v2, v7
	s_delay_alu instid0(VALU_DEP_3) | instskip(SKIP_1) | instid1(VALU_DEP_4)
	v_dual_mul_f32 v11, v12, v11 :: v_dual_fmac_f32 v14, v2, v6
	v_fmac_f32_e32 v15, v4, v8
	v_fmac_f32_e32 v16, v12, v10
	s_delay_alu instid0(VALU_DEP_4)
	v_fma_f32 v6, v6, v3, -v7
	v_fma_f32 v8, v8, v5, -v9
	;; [unrolled: 1-line block ×3, first 2 shown]
	v_cvt_f64_f32_e32 v[2:3], v14
	v_cvt_f64_f32_e32 v[10:11], v16
	;; [unrolled: 1-line block ×6, first 2 shown]
	v_mul_f64_e32 v[2:3], s[2:3], v[2:3]
	v_mul_f64_e32 v[10:11], s[2:3], v[10:11]
	;; [unrolled: 1-line block ×6, first 2 shown]
	v_cvt_f32_f64_e32 v2, v[2:3]
	v_cvt_f32_f64_e32 v3, v[4:5]
	;; [unrolled: 1-line block ×6, first 2 shown]
	v_add_co_u32 v8, vcc_lo, v0, s6
	s_wait_alu 0xfffd
	v_add_co_ci_u32_e32 v9, vcc_lo, s7, v1, vcc_lo
	s_delay_alu instid0(VALU_DEP_2) | instskip(SKIP_1) | instid1(VALU_DEP_2)
	v_add_co_u32 v10, vcc_lo, v8, s6
	s_wait_alu 0xfffd
	v_add_co_ci_u32_e32 v11, vcc_lo, s7, v9, vcc_lo
	global_store_b64 v[0:1], v[2:3], off
	global_store_b64 v[8:9], v[4:5], off
	;; [unrolled: 1-line block ×3, first 2 shown]
.LBB0_31:
	s_nop 0
	s_sendmsg sendmsg(MSG_DEALLOC_VGPRS)
	s_endpgm
	.section	.rodata,"a",@progbits
	.p2align	6, 0x0
	.amdhsa_kernel bluestein_single_fwd_len540_dim1_sp_op_CI_CI
		.amdhsa_group_segment_fixed_size 17280
		.amdhsa_private_segment_fixed_size 0
		.amdhsa_kernarg_size 104
		.amdhsa_user_sgpr_count 2
		.amdhsa_user_sgpr_dispatch_ptr 0
		.amdhsa_user_sgpr_queue_ptr 0
		.amdhsa_user_sgpr_kernarg_segment_ptr 1
		.amdhsa_user_sgpr_dispatch_id 0
		.amdhsa_user_sgpr_private_segment_size 0
		.amdhsa_wavefront_size32 1
		.amdhsa_uses_dynamic_stack 0
		.amdhsa_enable_private_segment 0
		.amdhsa_system_sgpr_workgroup_id_x 1
		.amdhsa_system_sgpr_workgroup_id_y 0
		.amdhsa_system_sgpr_workgroup_id_z 0
		.amdhsa_system_sgpr_workgroup_info 0
		.amdhsa_system_vgpr_workitem_id 0
		.amdhsa_next_free_vgpr 142
		.amdhsa_next_free_sgpr 18
		.amdhsa_reserve_vcc 1
		.amdhsa_float_round_mode_32 0
		.amdhsa_float_round_mode_16_64 0
		.amdhsa_float_denorm_mode_32 3
		.amdhsa_float_denorm_mode_16_64 3
		.amdhsa_fp16_overflow 0
		.amdhsa_workgroup_processor_mode 1
		.amdhsa_memory_ordered 1
		.amdhsa_forward_progress 0
		.amdhsa_round_robin_scheduling 0
		.amdhsa_exception_fp_ieee_invalid_op 0
		.amdhsa_exception_fp_denorm_src 0
		.amdhsa_exception_fp_ieee_div_zero 0
		.amdhsa_exception_fp_ieee_overflow 0
		.amdhsa_exception_fp_ieee_underflow 0
		.amdhsa_exception_fp_ieee_inexact 0
		.amdhsa_exception_int_div_zero 0
	.end_amdhsa_kernel
	.text
.Lfunc_end0:
	.size	bluestein_single_fwd_len540_dim1_sp_op_CI_CI, .Lfunc_end0-bluestein_single_fwd_len540_dim1_sp_op_CI_CI
                                        ; -- End function
	.section	.AMDGPU.csdata,"",@progbits
; Kernel info:
; codeLenInByte = 10916
; NumSgprs: 20
; NumVgprs: 142
; ScratchSize: 0
; MemoryBound: 0
; FloatMode: 240
; IeeeMode: 1
; LDSByteSize: 17280 bytes/workgroup (compile time only)
; SGPRBlocks: 2
; VGPRBlocks: 17
; NumSGPRsForWavesPerEU: 20
; NumVGPRsForWavesPerEU: 142
; Occupancy: 10
; WaveLimiterHint : 1
; COMPUTE_PGM_RSRC2:SCRATCH_EN: 0
; COMPUTE_PGM_RSRC2:USER_SGPR: 2
; COMPUTE_PGM_RSRC2:TRAP_HANDLER: 0
; COMPUTE_PGM_RSRC2:TGID_X_EN: 1
; COMPUTE_PGM_RSRC2:TGID_Y_EN: 0
; COMPUTE_PGM_RSRC2:TGID_Z_EN: 0
; COMPUTE_PGM_RSRC2:TIDIG_COMP_CNT: 0
	.text
	.p2alignl 7, 3214868480
	.fill 96, 4, 3214868480
	.type	__hip_cuid_5beb674bfeb79ad3,@object ; @__hip_cuid_5beb674bfeb79ad3
	.section	.bss,"aw",@nobits
	.globl	__hip_cuid_5beb674bfeb79ad3
__hip_cuid_5beb674bfeb79ad3:
	.byte	0                               ; 0x0
	.size	__hip_cuid_5beb674bfeb79ad3, 1

	.ident	"AMD clang version 19.0.0git (https://github.com/RadeonOpenCompute/llvm-project roc-6.4.0 25133 c7fe45cf4b819c5991fe208aaa96edf142730f1d)"
	.section	".note.GNU-stack","",@progbits
	.addrsig
	.addrsig_sym __hip_cuid_5beb674bfeb79ad3
	.amdgpu_metadata
---
amdhsa.kernels:
  - .args:
      - .actual_access:  read_only
        .address_space:  global
        .offset:         0
        .size:           8
        .value_kind:     global_buffer
      - .actual_access:  read_only
        .address_space:  global
        .offset:         8
        .size:           8
        .value_kind:     global_buffer
      - .actual_access:  read_only
        .address_space:  global
        .offset:         16
        .size:           8
        .value_kind:     global_buffer
      - .actual_access:  read_only
        .address_space:  global
        .offset:         24
        .size:           8
        .value_kind:     global_buffer
      - .actual_access:  read_only
        .address_space:  global
        .offset:         32
        .size:           8
        .value_kind:     global_buffer
      - .offset:         40
        .size:           8
        .value_kind:     by_value
      - .address_space:  global
        .offset:         48
        .size:           8
        .value_kind:     global_buffer
      - .address_space:  global
        .offset:         56
        .size:           8
        .value_kind:     global_buffer
      - .address_space:  global
        .offset:         64
        .size:           8
        .value_kind:     global_buffer
      - .address_space:  global
        .offset:         72
        .size:           8
        .value_kind:     global_buffer
      - .offset:         80
        .size:           4
        .value_kind:     by_value
      - .address_space:  global
        .offset:         88
        .size:           8
        .value_kind:     global_buffer
      - .address_space:  global
        .offset:         96
        .size:           8
        .value_kind:     global_buffer
    .group_segment_fixed_size: 17280
    .kernarg_segment_align: 8
    .kernarg_segment_size: 104
    .language:       OpenCL C
    .language_version:
      - 2
      - 0
    .max_flat_workgroup_size: 216
    .name:           bluestein_single_fwd_len540_dim1_sp_op_CI_CI
    .private_segment_fixed_size: 0
    .sgpr_count:     20
    .sgpr_spill_count: 0
    .symbol:         bluestein_single_fwd_len540_dim1_sp_op_CI_CI.kd
    .uniform_work_group_size: 1
    .uses_dynamic_stack: false
    .vgpr_count:     142
    .vgpr_spill_count: 0
    .wavefront_size: 32
    .workgroup_processor_mode: 1
amdhsa.target:   amdgcn-amd-amdhsa--gfx1201
amdhsa.version:
  - 1
  - 2
...

	.end_amdgpu_metadata
